;; amdgpu-corpus repo=ROCm/rocFFT kind=compiled arch=gfx1201 opt=O3
	.text
	.amdgcn_target "amdgcn-amd-amdhsa--gfx1201"
	.amdhsa_code_object_version 6
	.protected	fft_rtc_back_len1950_factors_13_5_10_3_wgs_195_tpt_195_sp_op_CI_CI_sbrr_dirReg ; -- Begin function fft_rtc_back_len1950_factors_13_5_10_3_wgs_195_tpt_195_sp_op_CI_CI_sbrr_dirReg
	.globl	fft_rtc_back_len1950_factors_13_5_10_3_wgs_195_tpt_195_sp_op_CI_CI_sbrr_dirReg
	.p2align	8
	.type	fft_rtc_back_len1950_factors_13_5_10_3_wgs_195_tpt_195_sp_op_CI_CI_sbrr_dirReg,@function
fft_rtc_back_len1950_factors_13_5_10_3_wgs_195_tpt_195_sp_op_CI_CI_sbrr_dirReg: ; @fft_rtc_back_len1950_factors_13_5_10_3_wgs_195_tpt_195_sp_op_CI_CI_sbrr_dirReg
; %bb.0:
	s_clause 0x2
	s_load_b128 s[12:15], s[0:1], 0x18
	s_load_b128 s[4:7], s[0:1], 0x0
	;; [unrolled: 1-line block ×3, first 2 shown]
	v_mul_u32_u24_e32 v1, 0x151, v0
	v_mov_b32_e32 v16, 0
	v_mov_b32_e32 v17, 0
	s_wait_kmcnt 0x0
	s_load_b64 s[18:19], s[12:13], 0x0
	s_load_b64 s[16:17], s[14:15], 0x0
	v_lshrrev_b32_e32 v2, 16, v1
	v_mov_b32_e32 v1, 0
	v_cmp_lt_u64_e64 s2, s[6:7], 2
	s_delay_alu instid0(VALU_DEP_2) | instskip(NEXT) | instid1(VALU_DEP_2)
	v_dual_mov_b32 v4, v1 :: v_dual_add_nc_u32 v3, ttmp9, v2
	s_and_b32 vcc_lo, exec_lo, s2
	s_cbranch_vccnz .LBB0_8
; %bb.1:
	s_load_b64 s[2:3], s[0:1], 0x10
	v_mov_b32_e32 v16, 0
	v_mov_b32_e32 v17, 0
	s_delay_alu instid0(VALU_DEP_2)
	v_mov_b32_e32 v12, v16
	s_add_nc_u64 s[20:21], s[14:15], 8
	s_add_nc_u64 s[22:23], s[12:13], 8
	s_mov_b64 s[24:25], 1
	v_mov_b32_e32 v13, v17
	s_wait_kmcnt 0x0
	s_add_nc_u64 s[26:27], s[2:3], 8
	s_mov_b32 s3, 0
.LBB0_2:                                ; =>This Inner Loop Header: Depth=1
	s_load_b64 s[28:29], s[26:27], 0x0
                                        ; implicit-def: $vgpr14_vgpr15
	s_mov_b32 s2, exec_lo
	s_wait_kmcnt 0x0
	v_or_b32_e32 v2, s29, v4
	s_delay_alu instid0(VALU_DEP_1)
	v_cmpx_ne_u64_e32 0, v[1:2]
	s_wait_alu 0xfffe
	s_xor_b32 s30, exec_lo, s2
	s_cbranch_execz .LBB0_4
; %bb.3:                                ;   in Loop: Header=BB0_2 Depth=1
	s_cvt_f32_u32 s2, s28
	s_cvt_f32_u32 s31, s29
	s_sub_nc_u64 s[36:37], 0, s[28:29]
	s_wait_alu 0xfffe
	s_delay_alu instid0(SALU_CYCLE_1) | instskip(SKIP_1) | instid1(SALU_CYCLE_2)
	s_fmamk_f32 s2, s31, 0x4f800000, s2
	s_wait_alu 0xfffe
	v_s_rcp_f32 s2, s2
	s_delay_alu instid0(TRANS32_DEP_1) | instskip(SKIP_1) | instid1(SALU_CYCLE_2)
	s_mul_f32 s2, s2, 0x5f7ffffc
	s_wait_alu 0xfffe
	s_mul_f32 s31, s2, 0x2f800000
	s_wait_alu 0xfffe
	s_delay_alu instid0(SALU_CYCLE_2) | instskip(SKIP_1) | instid1(SALU_CYCLE_2)
	s_trunc_f32 s31, s31
	s_wait_alu 0xfffe
	s_fmamk_f32 s2, s31, 0xcf800000, s2
	s_cvt_u32_f32 s35, s31
	s_wait_alu 0xfffe
	s_delay_alu instid0(SALU_CYCLE_1) | instskip(SKIP_1) | instid1(SALU_CYCLE_2)
	s_cvt_u32_f32 s34, s2
	s_wait_alu 0xfffe
	s_mul_u64 s[38:39], s[36:37], s[34:35]
	s_wait_alu 0xfffe
	s_mul_hi_u32 s41, s34, s39
	s_mul_i32 s40, s34, s39
	s_mul_hi_u32 s2, s34, s38
	s_mul_i32 s33, s35, s38
	s_wait_alu 0xfffe
	s_add_nc_u64 s[40:41], s[2:3], s[40:41]
	s_mul_hi_u32 s31, s35, s38
	s_mul_hi_u32 s42, s35, s39
	s_add_co_u32 s2, s40, s33
	s_wait_alu 0xfffe
	s_add_co_ci_u32 s2, s41, s31
	s_mul_i32 s38, s35, s39
	s_add_co_ci_u32 s39, s42, 0
	s_wait_alu 0xfffe
	s_add_nc_u64 s[38:39], s[2:3], s[38:39]
	s_wait_alu 0xfffe
	v_add_co_u32 v2, s2, s34, s38
	s_delay_alu instid0(VALU_DEP_1) | instskip(SKIP_1) | instid1(VALU_DEP_1)
	s_cmp_lg_u32 s2, 0
	s_add_co_ci_u32 s35, s35, s39
	v_readfirstlane_b32 s34, v2
	s_wait_alu 0xfffe
	s_delay_alu instid0(VALU_DEP_1)
	s_mul_u64 s[36:37], s[36:37], s[34:35]
	s_wait_alu 0xfffe
	s_mul_hi_u32 s39, s34, s37
	s_mul_i32 s38, s34, s37
	s_mul_hi_u32 s2, s34, s36
	s_mul_i32 s33, s35, s36
	s_wait_alu 0xfffe
	s_add_nc_u64 s[38:39], s[2:3], s[38:39]
	s_mul_hi_u32 s31, s35, s36
	s_mul_hi_u32 s34, s35, s37
	s_wait_alu 0xfffe
	s_add_co_u32 s2, s38, s33
	s_add_co_ci_u32 s2, s39, s31
	s_mul_i32 s36, s35, s37
	s_add_co_ci_u32 s37, s34, 0
	s_wait_alu 0xfffe
	s_add_nc_u64 s[36:37], s[2:3], s[36:37]
	s_wait_alu 0xfffe
	v_add_co_u32 v2, s2, v2, s36
	s_delay_alu instid0(VALU_DEP_1) | instskip(SKIP_1) | instid1(VALU_DEP_1)
	s_cmp_lg_u32 s2, 0
	s_add_co_ci_u32 s2, s35, s37
	v_mul_hi_u32 v11, v3, v2
	s_wait_alu 0xfffe
	v_mad_co_u64_u32 v[5:6], null, v3, s2, 0
	v_mad_co_u64_u32 v[7:8], null, v4, v2, 0
	;; [unrolled: 1-line block ×3, first 2 shown]
	s_delay_alu instid0(VALU_DEP_3) | instskip(SKIP_1) | instid1(VALU_DEP_4)
	v_add_co_u32 v2, vcc_lo, v11, v5
	s_wait_alu 0xfffd
	v_add_co_ci_u32_e32 v5, vcc_lo, 0, v6, vcc_lo
	s_delay_alu instid0(VALU_DEP_2) | instskip(SKIP_1) | instid1(VALU_DEP_2)
	v_add_co_u32 v2, vcc_lo, v2, v7
	s_wait_alu 0xfffd
	v_add_co_ci_u32_e32 v2, vcc_lo, v5, v8, vcc_lo
	s_wait_alu 0xfffd
	v_add_co_ci_u32_e32 v5, vcc_lo, 0, v10, vcc_lo
	s_delay_alu instid0(VALU_DEP_2) | instskip(SKIP_1) | instid1(VALU_DEP_2)
	v_add_co_u32 v2, vcc_lo, v2, v9
	s_wait_alu 0xfffd
	v_add_co_ci_u32_e32 v7, vcc_lo, 0, v5, vcc_lo
	s_delay_alu instid0(VALU_DEP_2) | instskip(SKIP_1) | instid1(VALU_DEP_3)
	v_mul_lo_u32 v8, s29, v2
	v_mad_co_u64_u32 v[5:6], null, s28, v2, 0
	v_mul_lo_u32 v9, s28, v7
	s_delay_alu instid0(VALU_DEP_2) | instskip(NEXT) | instid1(VALU_DEP_2)
	v_sub_co_u32 v5, vcc_lo, v3, v5
	v_add3_u32 v6, v6, v9, v8
	s_delay_alu instid0(VALU_DEP_1) | instskip(SKIP_1) | instid1(VALU_DEP_1)
	v_sub_nc_u32_e32 v8, v4, v6
	s_wait_alu 0xfffd
	v_subrev_co_ci_u32_e64 v8, s2, s29, v8, vcc_lo
	v_add_co_u32 v9, s2, v2, 2
	s_wait_alu 0xf1ff
	v_add_co_ci_u32_e64 v10, s2, 0, v7, s2
	v_sub_co_u32 v11, s2, v5, s28
	v_sub_co_ci_u32_e32 v6, vcc_lo, v4, v6, vcc_lo
	s_wait_alu 0xf1ff
	v_subrev_co_ci_u32_e64 v8, s2, 0, v8, s2
	s_delay_alu instid0(VALU_DEP_3) | instskip(NEXT) | instid1(VALU_DEP_3)
	v_cmp_le_u32_e32 vcc_lo, s28, v11
	v_cmp_eq_u32_e64 s2, s29, v6
	s_wait_alu 0xfffd
	v_cndmask_b32_e64 v11, 0, -1, vcc_lo
	v_cmp_le_u32_e32 vcc_lo, s29, v8
	s_wait_alu 0xfffd
	v_cndmask_b32_e64 v14, 0, -1, vcc_lo
	v_cmp_le_u32_e32 vcc_lo, s28, v5
	;; [unrolled: 3-line block ×3, first 2 shown]
	s_wait_alu 0xfffd
	v_cndmask_b32_e64 v15, 0, -1, vcc_lo
	v_cmp_eq_u32_e32 vcc_lo, s29, v8
	s_wait_alu 0xf1ff
	s_delay_alu instid0(VALU_DEP_2)
	v_cndmask_b32_e64 v5, v15, v5, s2
	s_wait_alu 0xfffd
	v_cndmask_b32_e32 v8, v14, v11, vcc_lo
	v_add_co_u32 v11, vcc_lo, v2, 1
	s_wait_alu 0xfffd
	v_add_co_ci_u32_e32 v14, vcc_lo, 0, v7, vcc_lo
	s_delay_alu instid0(VALU_DEP_3) | instskip(SKIP_1) | instid1(VALU_DEP_2)
	v_cmp_ne_u32_e32 vcc_lo, 0, v8
	s_wait_alu 0xfffd
	v_cndmask_b32_e32 v6, v14, v10, vcc_lo
	v_cndmask_b32_e32 v8, v11, v9, vcc_lo
	v_cmp_ne_u32_e32 vcc_lo, 0, v5
	s_wait_alu 0xfffd
	s_delay_alu instid0(VALU_DEP_2)
	v_dual_cndmask_b32 v15, v7, v6 :: v_dual_cndmask_b32 v14, v2, v8
.LBB0_4:                                ;   in Loop: Header=BB0_2 Depth=1
	s_wait_alu 0xfffe
	s_and_not1_saveexec_b32 s2, s30
	s_cbranch_execz .LBB0_6
; %bb.5:                                ;   in Loop: Header=BB0_2 Depth=1
	v_cvt_f32_u32_e32 v2, s28
	s_sub_co_i32 s30, 0, s28
	v_mov_b32_e32 v15, v1
	s_delay_alu instid0(VALU_DEP_2) | instskip(NEXT) | instid1(TRANS32_DEP_1)
	v_rcp_iflag_f32_e32 v2, v2
	v_mul_f32_e32 v2, 0x4f7ffffe, v2
	s_delay_alu instid0(VALU_DEP_1) | instskip(SKIP_1) | instid1(VALU_DEP_1)
	v_cvt_u32_f32_e32 v2, v2
	s_wait_alu 0xfffe
	v_mul_lo_u32 v5, s30, v2
	s_delay_alu instid0(VALU_DEP_1) | instskip(NEXT) | instid1(VALU_DEP_1)
	v_mul_hi_u32 v5, v2, v5
	v_add_nc_u32_e32 v2, v2, v5
	s_delay_alu instid0(VALU_DEP_1) | instskip(NEXT) | instid1(VALU_DEP_1)
	v_mul_hi_u32 v2, v3, v2
	v_mul_lo_u32 v5, v2, s28
	v_add_nc_u32_e32 v6, 1, v2
	s_delay_alu instid0(VALU_DEP_2) | instskip(NEXT) | instid1(VALU_DEP_1)
	v_sub_nc_u32_e32 v5, v3, v5
	v_subrev_nc_u32_e32 v7, s28, v5
	v_cmp_le_u32_e32 vcc_lo, s28, v5
	s_wait_alu 0xfffd
	s_delay_alu instid0(VALU_DEP_2) | instskip(NEXT) | instid1(VALU_DEP_1)
	v_dual_cndmask_b32 v5, v5, v7 :: v_dual_cndmask_b32 v2, v2, v6
	v_cmp_le_u32_e32 vcc_lo, s28, v5
	s_delay_alu instid0(VALU_DEP_2) | instskip(SKIP_1) | instid1(VALU_DEP_1)
	v_add_nc_u32_e32 v6, 1, v2
	s_wait_alu 0xfffd
	v_cndmask_b32_e32 v14, v2, v6, vcc_lo
.LBB0_6:                                ;   in Loop: Header=BB0_2 Depth=1
	s_wait_alu 0xfffe
	s_or_b32 exec_lo, exec_lo, s2
	v_mul_lo_u32 v2, v15, s28
	s_delay_alu instid0(VALU_DEP_2)
	v_mul_lo_u32 v7, v14, s29
	s_load_b64 s[30:31], s[22:23], 0x0
	v_mad_co_u64_u32 v[5:6], null, v14, s28, 0
	s_load_b64 s[28:29], s[20:21], 0x0
	s_add_nc_u64 s[24:25], s[24:25], 1
	s_add_nc_u64 s[20:21], s[20:21], 8
	s_wait_alu 0xfffe
	v_cmp_ge_u64_e64 s2, s[24:25], s[6:7]
	s_add_nc_u64 s[22:23], s[22:23], 8
	s_add_nc_u64 s[26:27], s[26:27], 8
	v_add3_u32 v2, v6, v7, v2
	v_sub_co_u32 v3, vcc_lo, v3, v5
	s_wait_alu 0xfffd
	s_delay_alu instid0(VALU_DEP_2) | instskip(SKIP_2) | instid1(VALU_DEP_1)
	v_sub_co_ci_u32_e32 v2, vcc_lo, v4, v2, vcc_lo
	s_and_b32 vcc_lo, exec_lo, s2
	s_wait_kmcnt 0x0
	v_mul_lo_u32 v4, s30, v2
	v_mul_lo_u32 v5, s31, v3
	v_mad_co_u64_u32 v[16:17], null, s30, v3, v[16:17]
	v_mul_lo_u32 v2, s28, v2
	v_mul_lo_u32 v6, s29, v3
	v_mad_co_u64_u32 v[12:13], null, s28, v3, v[12:13]
	s_delay_alu instid0(VALU_DEP_4) | instskip(NEXT) | instid1(VALU_DEP_2)
	v_add3_u32 v17, v5, v17, v4
	v_add3_u32 v13, v6, v13, v2
	s_wait_alu 0xfffe
	s_cbranch_vccnz .LBB0_9
; %bb.7:                                ;   in Loop: Header=BB0_2 Depth=1
	v_dual_mov_b32 v3, v14 :: v_dual_mov_b32 v4, v15
	s_branch .LBB0_2
.LBB0_8:
	v_dual_mov_b32 v12, v16 :: v_dual_mov_b32 v13, v17
	s_delay_alu instid0(VALU_DEP_2)
	v_dual_mov_b32 v15, v4 :: v_dual_mov_b32 v14, v3
.LBB0_9:
	s_load_b64 s[0:1], s[0:1], 0x28
	v_mul_hi_u32 v1, 0x1501502, v0
	s_lshl_b64 s[2:3], s[6:7], 3
                                        ; implicit-def: $vgpr33
                                        ; implicit-def: $vgpr31
                                        ; implicit-def: $vgpr27
                                        ; implicit-def: $vgpr29
                                        ; implicit-def: $vgpr25
                                        ; implicit-def: $vgpr23
                                        ; implicit-def: $vgpr3
                                        ; implicit-def: $vgpr5
                                        ; implicit-def: $vgpr7
                                        ; implicit-def: $vgpr9
                                        ; implicit-def: $vgpr21
                                        ; implicit-def: $vgpr11
	s_delay_alu instid0(VALU_DEP_1) | instskip(NEXT) | instid1(VALU_DEP_1)
	v_mul_u32_u24_e32 v1, 0xc3, v1
	v_sub_nc_u32_e32 v36, v0, v1
	v_dual_mov_b32 v1, 0 :: v_dual_mov_b32 v0, 0
	s_wait_kmcnt 0x0
	v_cmp_gt_u64_e32 vcc_lo, s[0:1], v[14:15]
	s_delay_alu instid0(VALU_DEP_3) | instskip(NEXT) | instid1(VALU_DEP_1)
	v_cmp_gt_u32_e64 s0, 0x96, v36
	s_and_b32 s1, vcc_lo, s0
	s_wait_alu 0xfffe
	s_and_saveexec_b32 s6, s1
	s_cbranch_execz .LBB0_11
; %bb.10:
	s_add_nc_u64 s[12:13], s[12:13], s[2:3]
	v_mad_co_u64_u32 v[0:1], null, s18, v36, 0
	s_load_b64 s[12:13], s[12:13], 0x0
	v_lshlrev_b64_e32 v[2:3], 3, v[16:17]
	v_add_nc_u32_e32 v23, 0x258, v36
	v_add_nc_u32_e32 v21, 0x12c, v36
	;; [unrolled: 1-line block ×4, first 2 shown]
	v_mad_co_u64_u32 v[16:17], null, s19, v36, v[1:2]
	v_mad_co_u64_u32 v[17:18], null, s18, v23, 0
	v_add_nc_u32_e32 v19, 0x96, v36
	v_mad_co_u64_u32 v[6:7], null, s18, v21, 0
	s_delay_alu instid0(VALU_DEP_2)
	v_mad_co_u64_u32 v[4:5], null, s18, v19, 0
	v_add_nc_u32_e32 v22, 0x1c2, v36
	s_wait_kmcnt 0x0
	v_mul_lo_u32 v20, s13, v14
	v_mul_lo_u32 v24, s12, v15
	v_mad_co_u64_u32 v[10:11], null, s12, v14, 0
	v_mov_b32_e32 v1, v5
	v_mad_co_u64_u32 v[8:9], null, s18, v22, 0
	v_mov_b32_e32 v5, v7
	s_delay_alu instid0(VALU_DEP_4) | instskip(NEXT) | instid1(VALU_DEP_4)
	v_add3_u32 v11, v11, v24, v20
	v_mad_co_u64_u32 v[19:20], null, s19, v19, v[1:2]
	s_delay_alu instid0(VALU_DEP_4) | instskip(SKIP_1) | instid1(VALU_DEP_4)
	v_mov_b32_e32 v7, v9
	v_mov_b32_e32 v1, v16
	v_lshlrev_b64_e32 v[9:10], 3, v[10:11]
	v_add_nc_u32_e32 v16, 0x2ee, v36
	v_mad_co_u64_u32 v[20:21], null, s19, v21, v[5:6]
	v_mad_co_u64_u32 v[21:22], null, s19, v22, v[7:8]
	s_delay_alu instid0(VALU_DEP_4)
	v_add_co_u32 v9, s1, s8, v9
	v_mov_b32_e32 v5, v19
	s_wait_alu 0xf1ff
	v_add_co_ci_u32_e64 v10, s1, s9, v10, s1
	v_dual_mov_b32 v7, v20 :: v_dual_add_nc_u32 v22, 0x546, v36
	v_lshlrev_b64_e32 v[0:1], 3, v[0:1]
	v_add_co_u32 v40, s1, v9, v2
	s_wait_alu 0xf1ff
	v_add_co_ci_u32_e64 v41, s1, v10, v3, s1
	v_lshlrev_b64_e32 v[2:3], 3, v[4:5]
	v_lshlrev_b64_e32 v[5:6], 3, v[6:7]
	v_dual_mov_b32 v9, v21 :: v_dual_mov_b32 v4, v18
	v_add_co_u32 v0, s1, v40, v0
	s_wait_alu 0xf1ff
	v_add_co_ci_u32_e64 v1, s1, v41, v1, s1
	s_delay_alu instid0(VALU_DEP_3)
	v_lshlrev_b64_e32 v[7:8], 3, v[8:9]
	v_mad_co_u64_u32 v[9:10], null, s19, v23, v[4:5]
	v_add_co_u32 v2, s1, v40, v2
	v_mad_co_u64_u32 v[10:11], null, s18, v16, 0
	s_wait_alu 0xf1ff
	v_add_co_ci_u32_e64 v3, s1, v41, v3, s1
	v_add_co_u32 v4, s1, v40, v5
	s_wait_alu 0xf1ff
	v_add_co_ci_u32_e64 v5, s1, v41, v6, s1
	v_add_co_u32 v6, s1, v40, v7
	v_add_nc_u32_e32 v21, 0x384, v36
	s_wait_alu 0xf1ff
	v_add_co_ci_u32_e64 v7, s1, v41, v8, s1
	v_mov_b32_e32 v8, v11
	v_mov_b32_e32 v18, v9
	v_mad_co_u64_u32 v[19:20], null, s18, v21, 0
	s_clause 0x3
	global_load_b64 v[0:1], v[0:1], off
	global_load_b64 v[32:33], v[2:3], off
	;; [unrolled: 1-line block ×4, first 2 shown]
	v_mad_co_u64_u32 v[8:9], null, s19, v16, v[8:9]
	v_add_nc_u32_e32 v16, 0x41a, v36
	v_add_nc_u32_e32 v23, 0x5dc, v36
	v_lshlrev_b64_e32 v[2:3], 3, v[17:18]
	v_mov_b32_e32 v4, v20
	s_delay_alu instid0(VALU_DEP_4)
	v_mad_co_u64_u32 v[5:6], null, s18, v16, 0
	v_mov_b32_e32 v11, v8
	v_mad_co_u64_u32 v[34:35], null, s18, v23, 0
	v_add_co_u32 v2, s1, v40, v2
	s_wait_alu 0xf1ff
	v_add_co_ci_u32_e64 v3, s1, v41, v3, s1
	v_mad_co_u64_u32 v[7:8], null, s19, v21, v[4:5]
	v_mov_b32_e32 v4, v6
	v_lshlrev_b64_e32 v[8:9], 3, v[10:11]
	s_delay_alu instid0(VALU_DEP_3) | instskip(NEXT) | instid1(VALU_DEP_3)
	v_dual_mov_b32 v20, v7 :: v_dual_add_nc_u32 v11, 0x4b0, v36
	v_mad_co_u64_u32 v[6:7], null, s19, v16, v[4:5]
	s_delay_alu instid0(VALU_DEP_2) | instskip(NEXT) | instid1(VALU_DEP_4)
	v_mad_co_u64_u32 v[16:17], null, s18, v11, 0
	v_add_co_u32 v7, s1, v40, v8
	s_wait_alu 0xf1ff
	v_add_co_ci_u32_e64 v8, s1, v41, v9, s1
	s_delay_alu instid0(VALU_DEP_4) | instskip(SKIP_3) | instid1(VALU_DEP_2)
	v_lshlrev_b64_e32 v[5:6], 3, v[5:6]
	v_lshlrev_b64_e32 v[9:10], 3, v[19:20]
	v_mov_b32_e32 v4, v17
	v_mad_co_u64_u32 v[18:19], null, s18, v22, 0
	v_mad_co_u64_u32 v[20:21], null, s19, v11, v[4:5]
	s_delay_alu instid0(VALU_DEP_4) | instskip(SKIP_2) | instid1(VALU_DEP_4)
	v_add_co_u32 v9, s1, v40, v9
	s_wait_alu 0xf1ff
	v_add_co_ci_u32_e64 v10, s1, v41, v10, s1
	v_mov_b32_e32 v4, v19
	v_add_co_u32 v5, s1, v40, v5
	v_mov_b32_e32 v17, v20
	s_wait_alu 0xf1ff
	v_add_co_ci_u32_e64 v6, s1, v41, v6, s1
	s_delay_alu instid0(VALU_DEP_3) | instskip(SKIP_2) | instid1(VALU_DEP_2)
	v_mad_co_u64_u32 v[19:20], null, s19, v22, v[4:5]
	v_mov_b32_e32 v4, v35
	v_mad_co_u64_u32 v[20:21], null, s18, v42, 0
	v_mad_co_u64_u32 v[37:38], null, s19, v23, v[4:5]
	;; [unrolled: 1-line block ×3, first 2 shown]
	s_clause 0x3
	global_load_b64 v[28:29], v[2:3], off
	global_load_b64 v[24:25], v[7:8], off
	;; [unrolled: 1-line block ×4, first 2 shown]
	v_lshlrev_b64_e32 v[3:4], 3, v[16:17]
	v_dual_mov_b32 v2, v21 :: v_dual_mov_b32 v35, v37
	s_delay_alu instid0(VALU_DEP_1)
	v_mad_co_u64_u32 v[5:6], null, s19, v42, v[2:3]
	v_mov_b32_e32 v2, v39
	v_add_co_u32 v3, s1, v40, v3
	v_lshlrev_b64_e32 v[6:7], 3, v[18:19]
	v_lshlrev_b64_e32 v[16:17], 3, v[34:35]
	s_wait_alu 0xf1ff
	v_add_co_ci_u32_e64 v4, s1, v41, v4, s1
	v_mad_co_u64_u32 v[8:9], null, s19, v43, v[2:3]
	v_mov_b32_e32 v21, v5
	v_add_co_u32 v5, s1, v40, v6
	s_wait_alu 0xf1ff
	v_add_co_ci_u32_e64 v6, s1, v41, v7, s1
	s_delay_alu instid0(VALU_DEP_3) | instskip(SKIP_4) | instid1(VALU_DEP_3)
	v_lshlrev_b64_e32 v[18:19], 3, v[20:21]
	v_mov_b32_e32 v39, v8
	v_add_co_u32 v16, s1, v40, v16
	s_wait_alu 0xf1ff
	v_add_co_ci_u32_e64 v17, s1, v41, v17, s1
	v_lshlrev_b64_e32 v[7:8], 3, v[38:39]
	v_add_co_u32 v18, s1, v40, v18
	s_wait_alu 0xf1ff
	v_add_co_ci_u32_e64 v19, s1, v41, v19, s1
	s_delay_alu instid0(VALU_DEP_3)
	v_add_co_u32 v34, s1, v40, v7
	s_wait_alu 0xf1ff
	v_add_co_ci_u32_e64 v35, s1, v41, v8, s1
	s_clause 0x4
	global_load_b64 v[20:21], v[3:4], off
	global_load_b64 v[8:9], v[5:6], off
	;; [unrolled: 1-line block ×5, first 2 shown]
.LBB0_11:
	s_wait_alu 0xfffe
	s_or_b32 exec_lo, exec_lo, s6
	s_wait_loadcnt 0x0
	v_dual_sub_f32 v49, v33, v3 :: v_dual_sub_f32 v52, v32, v2
	v_add_f32_e32 v37, v32, v2
	v_dual_sub_f32 v51, v30, v4 :: v_dual_sub_f32 v50, v31, v5
	s_delay_alu instid0(VALU_DEP_3) | instskip(SKIP_2) | instid1(VALU_DEP_4)
	v_mul_f32_e32 v57, 0xbf52af12, v49
	v_dual_add_f32 v39, v33, v3 :: v_dual_add_f32 v38, v30, v4
	v_mul_f32_e32 v58, 0xbf52af12, v52
	v_dual_mul_f32 v60, 0xbf6f5d39, v50 :: v_dual_sub_f32 v53, v27, v7
	s_delay_alu instid0(VALU_DEP_4) | instskip(SKIP_2) | instid1(VALU_DEP_4)
	v_fma_f32 v16, 0x3f116cb1, v37, -v57
	v_mul_f32_e32 v86, 0xbf7e222b, v52
	v_dual_add_f32 v40, v31, v5 :: v_dual_mul_f32 v87, 0xbe750f2a, v50
	v_fma_f32 v34, 0xbeb58ec6, v38, -v60
	s_delay_alu instid0(VALU_DEP_3) | instskip(SKIP_2) | instid1(VALU_DEP_3)
	v_dual_add_f32 v16, v0, v16 :: v_dual_fmamk_f32 v19, v39, 0x3df6dbef, v86
	v_dual_mul_f32 v62, 0xbf6f5d39, v51 :: v_dual_add_f32 v41, v26, v6
	v_dual_mul_f32 v89, 0xbe750f2a, v51 :: v_dual_sub_f32 v54, v26, v6
	v_add_f32_e32 v16, v16, v34
	s_delay_alu instid0(VALU_DEP_4) | instskip(SKIP_2) | instid1(VALU_DEP_3)
	v_dual_mul_f32 v82, 0xbf7e222b, v49 :: v_dual_add_f32 v19, v1, v19
	v_dual_mul_f32 v65, 0xbe750f2a, v53 :: v_dual_add_f32 v42, v27, v7
	v_fma_f32 v35, 0xbf788fa5, v38, -v87
	v_fma_f32 v18, 0x3df6dbef, v37, -v82
	v_fmamk_f32 v17, v39, 0x3f116cb1, v58
	s_delay_alu instid0(VALU_DEP_4) | instskip(SKIP_1) | instid1(VALU_DEP_3)
	v_fma_f32 v44, 0xbf788fa5, v41, -v65
	v_dual_mul_f32 v66, 0xbe750f2a, v54 :: v_dual_sub_f32 v55, v29, v9
	v_dual_add_f32 v18, v0, v18 :: v_dual_add_f32 v17, v1, v17
	v_fmamk_f32 v43, v40, 0xbf788fa5, v89
	s_delay_alu instid0(VALU_DEP_3) | instskip(NEXT) | instid1(VALU_DEP_3)
	v_dual_sub_f32 v56, v28, v8 :: v_dual_mul_f32 v67, 0x3f29c268, v55
	v_add_f32_e32 v18, v18, v35
	s_delay_alu instid0(VALU_DEP_3) | instskip(SKIP_2) | instid1(VALU_DEP_3)
	v_dual_fmamk_f32 v34, v40, 0xbeb58ec6, v62 :: v_dual_add_f32 v19, v19, v43
	v_add_f32_e32 v16, v16, v44
	v_dual_mul_f32 v88, 0x3f6f5d39, v53 :: v_dual_mul_f32 v91, 0x3f6f5d39, v54
	v_dual_add_f32 v17, v17, v34 :: v_dual_fmamk_f32 v34, v42, 0xbf788fa5, v66
	v_dual_add_f32 v43, v28, v8 :: v_dual_add_f32 v44, v29, v9
	v_mul_f32_e32 v69, 0x3f29c268, v56
	s_delay_alu instid0(VALU_DEP_4) | instskip(NEXT) | instid1(VALU_DEP_4)
	v_fma_f32 v35, 0xbeb58ec6, v41, -v88
	v_add_f32_e32 v17, v17, v34
	s_delay_alu instid0(VALU_DEP_4)
	v_fma_f32 v46, 0xbf3f9e67, v43, -v67
	v_fmamk_f32 v45, v42, 0xbeb58ec6, v91
	v_fmamk_f32 v34, v44, 0xbf3f9e67, v69
	v_dual_mul_f32 v90, 0x3eedf032, v55 :: v_dual_sub_f32 v59, v25, v21
	v_mul_f32_e32 v94, 0x3eedf032, v56
	v_add_f32_e32 v16, v16, v46
	v_dual_add_f32 v18, v18, v35 :: v_dual_add_f32 v19, v19, v45
	v_add_f32_e32 v17, v17, v34
	v_dual_sub_f32 v61, v24, v20 :: v_dual_add_f32 v46, v25, v21
	v_fma_f32 v34, 0x3f62ad3f, v43, -v90
	v_dual_add_f32 v45, v24, v20 :: v_dual_mul_f32 v92, 0xbf52af12, v59
	v_mul_f32_e32 v79, 0x3f7e222b, v59
	s_delay_alu instid0(VALU_DEP_4) | instskip(NEXT) | instid1(VALU_DEP_4)
	v_dual_mul_f32 v95, 0xbf52af12, v61 :: v_dual_sub_f32 v64, v22, v10
	v_add_f32_e32 v18, v18, v34
	s_delay_alu instid0(VALU_DEP_4) | instskip(NEXT) | instid1(VALU_DEP_4)
	v_fma_f32 v48, 0x3f116cb1, v45, -v92
	v_fma_f32 v47, 0x3df6dbef, v45, -v79
	v_mul_f32_e32 v81, 0x3f7e222b, v61
	v_fmamk_f32 v35, v44, 0x3f62ad3f, v94
	v_dual_sub_f32 v63, v23, v11 :: v_dual_mul_f32 v96, 0xbf29c268, v64
	s_delay_alu instid0(VALU_DEP_4) | instskip(SKIP_1) | instid1(VALU_DEP_4)
	v_add_f32_e32 v16, v16, v47
	v_add_f32_e32 v18, v18, v48
	v_dual_fmamk_f32 v34, v46, 0x3df6dbef, v81 :: v_dual_add_f32 v19, v19, v35
	v_dual_add_f32 v47, v22, v10 :: v_dual_add_f32 v48, v23, v11
	v_dual_mul_f32 v84, 0x3eedf032, v63 :: v_dual_mul_f32 v85, 0x3eedf032, v64
	s_delay_alu instid0(VALU_DEP_3) | instskip(NEXT) | instid1(VALU_DEP_3)
	v_dual_add_f32 v17, v17, v34 :: v_dual_fmamk_f32 v34, v46, 0x3f116cb1, v95
	v_fmamk_f32 v70, v48, 0xbf3f9e67, v96
	s_add_nc_u64 s[2:3], s[14:15], s[2:3]
	s_delay_alu instid0(VALU_DEP_2) | instskip(SKIP_2) | instid1(VALU_DEP_3)
	v_add_f32_e32 v19, v19, v34
	v_fma_f32 v34, 0x3f62ad3f, v47, -v84
	v_mul_f32_e32 v93, 0xbf29c268, v63
	v_add_f32_e32 v19, v19, v70
	s_delay_alu instid0(VALU_DEP_3) | instskip(NEXT) | instid1(VALU_DEP_3)
	v_add_f32_e32 v16, v16, v34
	v_fma_f32 v68, 0xbf3f9e67, v47, -v93
	s_delay_alu instid0(VALU_DEP_1) | instskip(NEXT) | instid1(VALU_DEP_1)
	v_dual_fmamk_f32 v35, v48, 0x3f62ad3f, v85 :: v_dual_add_f32 v18, v18, v68
	v_add_f32_e32 v17, v17, v35
	s_and_saveexec_b32 s1, s0
	s_cbranch_execz .LBB0_13
; %bb.12:
	v_dual_mul_f32 v73, 0xbe750f2a, v52 :: v_dual_mul_f32 v74, 0xbe750f2a, v49
	v_mul_f32_e32 v80, 0xbf6f5d39, v61
	v_dual_mul_f32 v107, 0x3e750f2a, v56 :: v_dual_mul_f32 v108, 0x3e750f2a, v55
	s_delay_alu instid0(VALU_DEP_3) | instskip(SKIP_3) | instid1(VALU_DEP_4)
	v_fma_f32 v34, 0xbf788fa5, v39, -v73
	v_mul_f32_e32 v71, 0x3eedf032, v51
	v_dual_mul_f32 v109, 0x3eedf032, v61 :: v_dual_mul_f32 v110, 0x3eedf032, v59
	v_dual_mul_f32 v117, 0x3eedf032, v54 :: v_dual_mul_f32 v120, 0x3eedf032, v53
	v_add_f32_e32 v34, v1, v34
	s_delay_alu instid0(VALU_DEP_4) | instskip(SKIP_3) | instid1(VALU_DEP_4)
	v_fma_f32 v70, 0x3f62ad3f, v40, -v71
	v_fmamk_f32 v35, v37, 0xbf788fa5, v74
	v_mul_f32_e32 v121, 0x3e750f2a, v61
	v_fmac_f32_e32 v71, 0x3f62ad3f, v40
	v_dual_add_f32 v33, v1, v33 :: v_dual_add_f32 v34, v34, v70
	s_delay_alu instid0(VALU_DEP_4) | instskip(NEXT) | instid1(VALU_DEP_2)
	v_dual_mul_f32 v68, 0xbf29c268, v54 :: v_dual_add_f32 v35, v0, v35
	v_dual_mul_f32 v106, 0xbf52af12, v53 :: v_dual_add_f32 v33, v33, v31
	v_add_f32_e32 v32, v0, v32
	s_delay_alu instid0(VALU_DEP_3) | instskip(SKIP_1) | instid1(VALU_DEP_4)
	v_fma_f32 v83, 0xbf3f9e67, v42, -v68
	v_mul_f32_e32 v75, 0x3eedf032, v50
	v_dual_mul_f32 v102, 0x3f7e222b, v50 :: v_dual_add_f32 v33, v33, v27
	s_delay_alu instid0(VALU_DEP_4) | instskip(NEXT) | instid1(VALU_DEP_4)
	v_add_f32_e32 v32, v32, v30
	v_add_f32_e32 v34, v34, v83
	s_delay_alu instid0(VALU_DEP_4)
	v_fmamk_f32 v77, v38, 0x3f62ad3f, v75
	v_mul_f32_e32 v76, 0x3f52af12, v56
	v_mul_f32_e32 v83, 0xbf6f5d39, v59
	v_fma_f32 v99, 0xbeb58ec6, v46, -v80
	v_fmamk_f32 v105, v38, 0x3df6dbef, v102
	v_add_f32_e32 v35, v35, v77
	v_mul_f32_e32 v72, 0xbf29c268, v53
	v_fma_f32 v97, 0x3f116cb1, v44, -v76
	v_mul_f32_e32 v77, 0x3f7e222b, v64
	v_dual_mul_f32 v111, 0xbf6f5d39, v52 :: v_dual_add_f32 v32, v32, v26
	v_mul_f32_e32 v26, 0xbf788fa5, v40
	s_delay_alu instid0(VALU_DEP_4) | instskip(SKIP_3) | instid1(VALU_DEP_3)
	v_dual_add_f32 v34, v34, v97 :: v_dual_fmamk_f32 v97, v45, 0xbeb58ec6, v83
	v_fmamk_f32 v70, v41, 0xbf3f9e67, v72
	v_dual_add_f32 v33, v33, v29 :: v_dual_mul_f32 v112, 0xbf6f5d39, v63
	v_mul_f32_e32 v114, 0xbf6f5d39, v49
	v_dual_sub_f32 v26, v26, v89 :: v_dual_add_f32 v35, v35, v70
	v_mul_f32_e32 v78, 0x3f52af12, v55
	v_mul_f32_e32 v70, 0x3f7e222b, v63
	v_dual_add_f32 v34, v34, v99 :: v_dual_fmamk_f32 v113, v47, 0xbeb58ec6, v112
	v_mul_f32_e32 v89, 0x3df6dbef, v37
	s_delay_alu instid0(VALU_DEP_4) | instskip(NEXT) | instid1(VALU_DEP_4)
	v_fmamk_f32 v98, v43, 0x3f116cb1, v78
	v_fmamk_f32 v99, v47, 0x3df6dbef, v70
	v_dual_mul_f32 v123, 0xbf7e222b, v55 :: v_dual_mul_f32 v118, 0xbf7e222b, v56
	s_delay_alu instid0(VALU_DEP_3)
	v_dual_add_f32 v82, v82, v89 :: v_dual_add_f32 v35, v35, v98
	v_fma_f32 v98, 0x3df6dbef, v48, -v77
	v_mul_f32_e32 v100, 0xbf29c268, v52
	v_mul_f32_e32 v52, 0xbeedf032, v52
	v_fmac_f32_e32 v77, 0x3df6dbef, v48
	v_add_f32_e32 v97, v35, v97
	v_add_f32_e32 v35, v34, v98
	v_fma_f32 v98, 0xbf3f9e67, v39, -v100
	v_fmac_f32_e32 v76, 0x3f116cb1, v44
	v_fmamk_f32 v122, v41, 0x3f62ad3f, v120
	v_dual_add_f32 v34, v97, v99 :: v_dual_mul_f32 v97, 0xbf29c268, v49
	s_delay_alu instid0(VALU_DEP_4) | instskip(SKIP_2) | instid1(VALU_DEP_3)
	v_dual_mul_f32 v99, 0x3f7e222b, v51 :: v_dual_add_f32 v98, v1, v98
	v_dual_mul_f32 v49, 0xbeedf032, v49 :: v_dual_add_f32 v82, v0, v82
	v_mul_f32_e32 v124, 0xbf788fa5, v38
	v_fma_f32 v103, 0x3df6dbef, v40, -v99
	v_dual_fmamk_f32 v101, v37, 0xbf3f9e67, v97 :: v_dual_add_f32 v32, v32, v28
	v_mul_f32_e32 v28, 0xbf3f9e67, v48
	s_delay_alu instid0(VALU_DEP_3) | instskip(NEXT) | instid1(VALU_DEP_3)
	v_dual_add_f32 v87, v87, v124 :: v_dual_add_f32 v98, v98, v103
	v_dual_add_f32 v101, v0, v101 :: v_dual_mul_f32 v104, 0xbf52af12, v54
	s_delay_alu instid0(VALU_DEP_4) | instskip(NEXT) | instid1(VALU_DEP_3)
	v_add_f32_e32 v32, v32, v24
	v_dual_add_f32 v82, v82, v87 :: v_dual_mul_f32 v87, 0x3f116cb1, v46
	s_delay_alu instid0(VALU_DEP_3) | instskip(NEXT) | instid1(VALU_DEP_4)
	v_add_f32_e32 v101, v101, v105
	v_fma_f32 v103, 0x3f116cb1, v42, -v104
	v_dual_fmamk_f32 v105, v41, 0x3f116cb1, v106 :: v_dual_sub_f32 v28, v28, v96
	v_add_f32_e32 v33, v33, v25
	s_delay_alu instid0(VALU_DEP_3) | instskip(SKIP_1) | instid1(VALU_DEP_4)
	v_dual_mul_f32 v53, 0xbf7e222b, v53 :: v_dual_add_f32 v98, v98, v103
	v_fma_f32 v103, 0xbf788fa5, v44, -v107
	v_add_f32_e32 v101, v101, v105
	s_delay_alu instid0(VALU_DEP_4)
	v_add_f32_e32 v23, v33, v23
	v_fmamk_f32 v33, v37, 0x3f62ad3f, v49
	v_mul_f32_e32 v55, 0xbf6f5d39, v55
	v_add_f32_e32 v31, v98, v103
	v_fmamk_f32 v103, v45, 0x3f62ad3f, v110
	v_fmamk_f32 v105, v43, 0xbf788fa5, v108
	v_fma_f32 v98, 0x3f62ad3f, v46, -v109
	v_add_f32_e32 v33, v0, v33
	v_dual_add_f32 v23, v23, v11 :: v_dual_fmac_f32 v68, 0xbf3f9e67, v42
	s_delay_alu instid0(VALU_DEP_3) | instskip(SKIP_1) | instid1(VALU_DEP_3)
	v_dual_add_f32 v101, v101, v105 :: v_dual_add_f32 v30, v31, v98
	v_fma_f32 v31, 0xbeb58ec6, v39, -v111
	v_dual_add_f32 v21, v21, v23 :: v_dual_fmac_f32 v80, 0xbeb58ec6, v46
	s_delay_alu instid0(VALU_DEP_3) | instskip(SKIP_1) | instid1(VALU_DEP_4)
	v_dual_add_f32 v98, v101, v103 :: v_dual_mul_f32 v105, 0xbf6f5d39, v64
	v_mul_f32_e32 v101, 0x3f29c268, v51
	v_add_f32_e32 v115, v1, v31
	v_mul_f32_e32 v51, 0xbf52af12, v51
	v_add_f32_e32 v9, v9, v21
	v_fma_f32 v103, 0xbeb58ec6, v48, -v105
	v_fma_f32 v116, 0xbf3f9e67, v40, -v101
	v_fmac_f32_e32 v111, 0xbeb58ec6, v39
	v_fmac_f32_e32 v99, 0x3df6dbef, v40
	v_add_f32_e32 v7, v7, v9
	v_dual_add_f32 v31, v30, v103 :: v_dual_fmamk_f32 v30, v37, 0xbeb58ec6, v114
	v_mul_f32_e32 v103, 0x3f29c268, v50
	v_add_f32_e32 v115, v115, v116
	v_fma_f32 v116, 0x3f62ad3f, v42, -v117
	v_mul_f32_e32 v50, 0xbf52af12, v50
	s_delay_alu instid0(VALU_DEP_4) | instskip(SKIP_1) | instid1(VALU_DEP_4)
	v_dual_add_f32 v30, v0, v30 :: v_dual_fmamk_f32 v119, v38, 0xbf3f9e67, v103
	v_add_f32_e32 v5, v5, v7
	v_add_f32_e32 v115, v115, v116
	v_fma_f32 v116, 0x3df6dbef, v44, -v118
	v_fmac_f32_e32 v117, 0x3f62ad3f, v42
	v_add_f32_e32 v119, v30, v119
	v_add_f32_e32 v30, v98, v113
	v_fma_f32 v113, 0xbf788fa5, v46, -v121
	v_add_f32_e32 v98, v115, v116
	v_fmamk_f32 v116, v43, 0x3df6dbef, v123
	v_dual_add_f32 v115, v119, v122 :: v_dual_mul_f32 v122, 0x3f52af12, v64
	v_add_f32_e32 v3, v3, v5
	s_delay_alu instid0(VALU_DEP_4) | instskip(SKIP_1) | instid1(VALU_DEP_4)
	v_dual_add_f32 v27, v98, v113 :: v_dual_fmac_f32 v100, 0xbf3f9e67, v39
	v_fmac_f32_e32 v101, 0xbf3f9e67, v40
	v_dual_add_f32 v98, v115, v116 :: v_dual_mul_f32 v115, 0x3df6dbef, v39
	v_fma_f32 v116, 0x3f116cb1, v48, -v122
	v_fmac_f32_e32 v107, 0xbf788fa5, v44
	v_fmac_f32_e32 v104, 0x3f116cb1, v42
	v_fmac_f32_e32 v109, 0x3f62ad3f, v46
	v_sub_f32_e32 v86, v115, v86
	v_add_f32_e32 v27, v27, v116
	v_fmac_f32_e32 v122, 0x3f116cb1, v48
	s_delay_alu instid0(VALU_DEP_3) | instskip(SKIP_1) | instid1(VALU_DEP_2)
	v_dual_add_f32 v86, v1, v86 :: v_dual_mul_f32 v119, 0x3e750f2a, v59
	v_fmac_f32_e32 v121, 0xbf788fa5, v46
	v_dual_add_f32 v86, v86, v26 :: v_dual_fmamk_f32 v113, v45, 0xbf788fa5, v119
	s_delay_alu instid0(VALU_DEP_1) | instskip(SKIP_1) | instid1(VALU_DEP_1)
	v_dual_mul_f32 v115, 0xbeb58ec6, v42 :: v_dual_add_f32 v98, v98, v113
	v_mul_f32_e32 v113, 0x3f52af12, v63
	v_fmamk_f32 v116, v47, 0x3f116cb1, v113
	s_delay_alu instid0(VALU_DEP_1) | instskip(NEXT) | instid1(VALU_DEP_4)
	v_add_f32_e32 v26, v98, v116
	v_dual_mul_f32 v98, 0xbeb58ec6, v41 :: v_dual_sub_f32 v89, v115, v91
	s_delay_alu instid0(VALU_DEP_1) | instskip(NEXT) | instid1(VALU_DEP_1)
	v_dual_mul_f32 v91, 0x3f62ad3f, v44 :: v_dual_add_f32 v88, v88, v98
	v_dual_add_f32 v86, v86, v89 :: v_dual_sub_f32 v89, v91, v94
	s_delay_alu instid0(VALU_DEP_2) | instskip(SKIP_2) | instid1(VALU_DEP_4)
	v_add_f32_e32 v82, v82, v88
	v_mul_f32_e32 v88, 0x3f116cb1, v45
	v_mul_f32_e32 v91, 0x3f62ad3f, v43
	v_dual_add_f32 v29, v86, v89 :: v_dual_sub_f32 v86, v87, v95
	v_mul_f32_e32 v89, 0x3f116cb1, v37
	s_delay_alu instid0(VALU_DEP_2) | instskip(SKIP_2) | instid1(VALU_DEP_2)
	v_dual_add_f32 v29, v29, v86 :: v_dual_add_f32 v86, v92, v88
	v_mul_f32_e32 v88, 0x3f116cb1, v39
	v_add_f32_e32 v87, v90, v91
	v_dual_add_f32 v57, v57, v89 :: v_dual_sub_f32 v58, v88, v58
	v_mul_f32_e32 v88, 0xbeb58ec6, v38
	s_delay_alu instid0(VALU_DEP_3) | instskip(SKIP_1) | instid1(VALU_DEP_4)
	v_add_f32_e32 v82, v82, v87
	v_mul_f32_e32 v87, 0xbf3f9e67, v47
	v_dual_add_f32 v57, v0, v57 :: v_dual_add_f32 v58, v1, v58
	s_delay_alu instid0(VALU_DEP_4) | instskip(NEXT) | instid1(VALU_DEP_4)
	v_add_f32_e32 v60, v60, v88
	v_add_f32_e32 v82, v82, v86
	s_delay_alu instid0(VALU_DEP_4) | instskip(SKIP_1) | instid1(VALU_DEP_2)
	v_dual_add_f32 v86, v93, v87 :: v_dual_mul_f32 v87, 0xbeb58ec6, v40
	v_add_f32_e32 v29, v29, v28
	v_dual_add_f32 v57, v57, v60 :: v_dual_sub_f32 v28, v87, v62
	v_dual_mul_f32 v62, 0xbf788fa5, v42 :: v_dual_mul_f32 v87, 0xbf788fa5, v41
	s_delay_alu instid0(VALU_DEP_2) | instskip(NEXT) | instid1(VALU_DEP_2)
	v_add_f32_e32 v28, v58, v28
	v_sub_f32_e32 v58, v62, v66
	s_delay_alu instid0(VALU_DEP_3) | instskip(SKIP_1) | instid1(VALU_DEP_2)
	v_add_f32_e32 v60, v65, v87
	v_mul_f32_e32 v65, 0xbf3f9e67, v43
	v_dual_mul_f32 v66, 0x3df6dbef, v46 :: v_dual_add_f32 v57, v57, v60
	s_delay_alu instid0(VALU_DEP_2) | instskip(SKIP_3) | instid1(VALU_DEP_4)
	v_add_f32_e32 v60, v67, v65
	v_mul_f32_e32 v65, 0x3df6dbef, v45
	v_mul_f32_e32 v62, 0xbf3f9e67, v44
	v_add_f32_e32 v58, v28, v58
	v_dual_add_f32 v28, v82, v86 :: v_dual_add_f32 v57, v57, v60
	s_delay_alu instid0(VALU_DEP_4) | instskip(NEXT) | instid1(VALU_DEP_4)
	v_add_f32_e32 v65, v79, v65
	v_sub_f32_e32 v62, v62, v69
	s_delay_alu instid0(VALU_DEP_2) | instskip(NEXT) | instid1(VALU_DEP_2)
	v_dual_mul_f32 v60, 0x3f62ad3f, v48 :: v_dual_add_f32 v57, v57, v65
	v_add_f32_e32 v58, v58, v62
	v_sub_f32_e32 v62, v66, v81
	s_delay_alu instid0(VALU_DEP_1) | instskip(NEXT) | instid1(VALU_DEP_4)
	v_dual_mul_f32 v66, 0x3f62ad3f, v47 :: v_dual_add_f32 v25, v58, v62
	v_sub_f32_e32 v58, v60, v85
	s_delay_alu instid0(VALU_DEP_2) | instskip(SKIP_1) | instid1(VALU_DEP_2)
	v_add_f32_e32 v60, v84, v66
	v_mul_f32_e32 v62, 0xbe750f2a, v64
	v_add_f32_e32 v24, v57, v60
	v_fma_f32 v57, 0x3f62ad3f, v39, -v52
	v_fmamk_f32 v60, v38, 0x3f116cb1, v50
	s_delay_alu instid0(VALU_DEP_2) | instskip(NEXT) | instid1(VALU_DEP_2)
	v_dual_fmac_f32 v52, 0x3f62ad3f, v39 :: v_dual_add_f32 v57, v1, v57
	v_add_f32_e32 v33, v33, v60
	v_add_f32_e32 v25, v25, v58
	v_fma_f32 v58, 0x3f116cb1, v40, -v51
	v_fmamk_f32 v60, v41, 0x3df6dbef, v53
	v_mul_f32_e32 v54, 0xbf7e222b, v54
	v_fmac_f32_e32 v51, 0x3f116cb1, v40
	s_delay_alu instid0(VALU_DEP_4) | instskip(NEXT) | instid1(VALU_DEP_4)
	v_add_f32_e32 v57, v57, v58
	v_add_f32_e32 v33, v33, v60
	s_delay_alu instid0(VALU_DEP_4) | instskip(SKIP_3) | instid1(VALU_DEP_4)
	v_fma_f32 v58, 0x3df6dbef, v42, -v54
	v_dual_mul_f32 v61, 0xbf29c268, v61 :: v_dual_add_f32 v22, v32, v22
	v_fmac_f32_e32 v73, 0xbf788fa5, v39
	v_fmac_f32_e32 v54, 0x3df6dbef, v42
	v_dual_add_f32 v57, v57, v58 :: v_dual_mul_f32 v56, 0xbf6f5d39, v56
	s_delay_alu instid0(VALU_DEP_3) | instskip(NEXT) | instid1(VALU_DEP_2)
	v_dual_add_f32 v22, v22, v10 :: v_dual_add_f32 v23, v1, v73
	v_fma_f32 v58, 0xbeb58ec6, v44, -v56
	s_delay_alu instid0(VALU_DEP_2) | instskip(SKIP_1) | instid1(VALU_DEP_3)
	v_dual_add_f32 v20, v20, v22 :: v_dual_add_f32 v21, v23, v71
	v_fma_f32 v23, 0x3f62ad3f, v38, -v75
	v_add_f32_e32 v57, v57, v58
	v_fma_f32 v58, 0xbf3f9e67, v46, -v61
	s_delay_alu instid0(VALU_DEP_4) | instskip(SKIP_2) | instid1(VALU_DEP_4)
	v_dual_mul_f32 v59, 0xbf29c268, v59 :: v_dual_add_f32 v8, v8, v20
	v_add_f32_e32 v9, v21, v68
	v_fma_f32 v21, 0xbf3f9e67, v41, -v72
	v_add_f32_e32 v32, v57, v58
	v_fma_f32 v57, 0xbf788fa5, v48, -v62
	v_fmamk_f32 v60, v43, 0xbeb58ec6, v55
	v_mul_f32_e32 v58, 0xbe750f2a, v63
	v_add_f32_e32 v6, v6, v8
	s_delay_alu instid0(VALU_DEP_4) | instskip(NEXT) | instid1(VALU_DEP_4)
	v_dual_fmac_f32 v56, 0xbeb58ec6, v44 :: v_dual_add_f32 v11, v32, v57
	v_add_f32_e32 v33, v33, v60
	v_fmamk_f32 v60, v45, 0xbf3f9e67, v59
	v_fmamk_f32 v32, v47, 0xbf788fa5, v58
	v_fmac_f32_e32 v62, 0xbf788fa5, v48
	v_fmac_f32_e32 v61, 0xbf3f9e67, v46
	s_delay_alu instid0(VALU_DEP_4) | instskip(NEXT) | instid1(VALU_DEP_1)
	v_add_f32_e32 v33, v33, v60
	v_add_f32_e32 v10, v33, v32
	v_fma_f32 v32, 0xbf788fa5, v37, -v74
	s_delay_alu instid0(VALU_DEP_1) | instskip(SKIP_1) | instid1(VALU_DEP_2)
	v_add_f32_e32 v22, v0, v32
	v_mad_u32_u24 v32, 0x68, v36, 0
	v_dual_add_f32 v20, v22, v23 :: v_dual_add_f32 v7, v9, v76
	v_fma_f32 v9, 0x3f116cb1, v43, -v78
	v_fma_f32 v23, 0xbf788fa5, v47, -v58
	s_delay_alu instid0(VALU_DEP_3) | instskip(NEXT) | instid1(VALU_DEP_4)
	v_add_f32_e32 v8, v20, v21
	v_dual_add_f32 v4, v4, v6 :: v_dual_add_f32 v5, v7, v80
	v_fma_f32 v7, 0xbeb58ec6, v45, -v83
	v_add_f32_e32 v20, v1, v111
	s_delay_alu instid0(VALU_DEP_4)
	v_add_f32_e32 v6, v8, v9
	v_fma_f32 v8, 0x3df6dbef, v38, -v102
	v_fma_f32 v9, 0x3df6dbef, v47, -v70
	;; [unrolled: 1-line block ×3, first 2 shown]
	v_add_f32_e32 v20, v20, v101
	v_dual_add_f32 v6, v6, v7 :: v_dual_add_f32 v7, v1, v100
	v_add_f32_e32 v2, v2, v4
	v_fma_f32 v4, 0xbf3f9e67, v37, -v97
	s_delay_alu instid0(VALU_DEP_4) | instskip(NEXT) | instid1(VALU_DEP_4)
	v_dual_add_f32 v20, v20, v117 :: v_dual_add_f32 v1, v1, v52
	v_add_f32_e32 v7, v7, v99
	v_fmac_f32_e32 v105, 0xbeb58ec6, v48
	s_delay_alu instid0(VALU_DEP_4) | instskip(NEXT) | instid1(VALU_DEP_4)
	v_dual_add_f32 v4, v0, v4 :: v_dual_add_f32 v5, v5, v77
	v_add_f32_e32 v1, v1, v51
	s_delay_alu instid0(VALU_DEP_4) | instskip(NEXT) | instid1(VALU_DEP_3)
	v_add_f32_e32 v7, v7, v104
	v_add_f32_e32 v4, v4, v8
	v_fma_f32 v8, 0x3f116cb1, v41, -v106
	s_delay_alu instid0(VALU_DEP_4) | instskip(NEXT) | instid1(VALU_DEP_2)
	v_add_f32_e32 v1, v1, v54
	v_dual_add_f32 v7, v7, v107 :: v_dual_add_f32 v4, v4, v8
	v_fma_f32 v8, 0xbf788fa5, v43, -v108
	s_delay_alu instid0(VALU_DEP_2) | instskip(NEXT) | instid1(VALU_DEP_4)
	v_dual_add_f32 v7, v7, v109 :: v_dual_fmac_f32 v118, 0x3df6dbef, v44
	v_add_f32_e32 v1, v1, v56
	s_delay_alu instid0(VALU_DEP_3) | instskip(SKIP_1) | instid1(VALU_DEP_4)
	v_add_f32_e32 v4, v4, v8
	v_fma_f32 v8, 0x3f62ad3f, v45, -v110
	v_dual_add_f32 v7, v7, v105 :: v_dual_add_f32 v20, v20, v118
	s_delay_alu instid0(VALU_DEP_4) | instskip(NEXT) | instid1(VALU_DEP_3)
	v_add_f32_e32 v22, v1, v61
	v_add_f32_e32 v8, v4, v8
	;; [unrolled: 1-line block ×3, first 2 shown]
	s_delay_alu instid0(VALU_DEP_4) | instskip(SKIP_1) | instid1(VALU_DEP_4)
	v_add_f32_e32 v9, v20, v121
	v_fma_f32 v20, 0x3f62ad3f, v37, -v49
	v_add_f32_e32 v6, v8, v21
	v_fma_f32 v8, 0xbeb58ec6, v37, -v114
	v_fma_f32 v21, 0xbf3f9e67, v38, -v103
	v_add_f32_e32 v1, v9, v122
	s_delay_alu instid0(VALU_DEP_3) | instskip(SKIP_2) | instid1(VALU_DEP_3)
	v_dual_add_f32 v9, v22, v62 :: v_dual_add_f32 v8, v0, v8
	v_add_f32_e32 v0, v0, v20
	v_fma_f32 v20, 0x3f116cb1, v38, -v50
	v_add_f32_e32 v8, v8, v21
	v_fma_f32 v21, 0x3f62ad3f, v41, -v120
	s_delay_alu instid0(VALU_DEP_3) | instskip(SKIP_1) | instid1(VALU_DEP_3)
	v_add_f32_e32 v0, v0, v20
	v_fma_f32 v20, 0x3df6dbef, v41, -v53
	v_add_f32_e32 v8, v8, v21
	v_fma_f32 v21, 0x3df6dbef, v43, -v123
	s_delay_alu instid0(VALU_DEP_3) | instskip(SKIP_1) | instid1(VALU_DEP_3)
	;; [unrolled: 5-line block ×3, first 2 shown]
	v_add_f32_e32 v0, v0, v20
	v_fma_f32 v20, 0xbf3f9e67, v45, -v59
	v_add_f32_e32 v8, v8, v21
	v_fma_f32 v21, 0x3f116cb1, v47, -v113
	s_delay_alu instid0(VALU_DEP_3) | instskip(NEXT) | instid1(VALU_DEP_2)
	v_add_f32_e32 v20, v0, v20
	v_add_f32_e32 v0, v8, v21
	s_delay_alu instid0(VALU_DEP_2)
	v_add_f32_e32 v8, v20, v23
	ds_store_2addr_b64 v32, v[2:3], v[10:11] offset1:1
	ds_store_2addr_b64 v32, v[24:25], v[28:29] offset0:2 offset1:3
	ds_store_2addr_b64 v32, v[26:27], v[30:31] offset0:4 offset1:5
	;; [unrolled: 1-line block ×5, first 2 shown]
	ds_store_b64 v32, v[8:9] offset:96
.LBB0_13:
	s_wait_alu 0xfffe
	s_or_b32 exec_lo, exec_lo, s1
	v_and_b32_e32 v24, 0xff, v36
	v_add_nc_u32_e32 v30, 0xc3, v36
	s_load_b64 s[2:3], s[2:3], 0x0
	global_wb scope:SCOPE_SE
	s_wait_dscnt 0x0
	s_wait_kmcnt 0x0
	s_barrier_signal -1
	v_mul_lo_u16 v0, 0x4f, v24
	v_and_b32_e32 v1, 0xffff, v30
	s_barrier_wait -1
	global_inv scope:SCOPE_SE
	v_mul_lo_u16 v24, 0xfd, v24
	v_lshrrev_b16 v29, 10, v0
	v_mul_u32_u24_e32 v1, 0x4ec5, v1
	v_cmp_gt_u32_e64 s0, 0x41, v36
	s_delay_alu instid0(VALU_DEP_4) | instskip(NEXT) | instid1(VALU_DEP_4)
	v_lshrrev_b16 v51, 14, v24
	v_mul_lo_u16 v0, v29, 13
	s_delay_alu instid0(VALU_DEP_4) | instskip(SKIP_1) | instid1(VALU_DEP_4)
	v_lshrrev_b32_e32 v49, 18, v1
	v_lshl_add_u32 v24, v36, 3, 0
	v_mul_lo_u16 v25, 0x41, v51
	s_delay_alu instid0(VALU_DEP_4) | instskip(NEXT) | instid1(VALU_DEP_4)
	v_sub_nc_u16 v0, v36, v0
	v_mul_lo_u16 v5, v49, 13
	v_mul_u32_u24_e32 v49, 0x208, v49
	s_delay_alu instid0(VALU_DEP_4) | instskip(NEXT) | instid1(VALU_DEP_4)
	v_sub_nc_u16 v41, v36, v25
	v_and_b32_e32 v35, 0xff, v0
	s_delay_alu instid0(VALU_DEP_4) | instskip(NEXT) | instid1(VALU_DEP_2)
	v_sub_nc_u16 v8, v30, v5
	v_lshlrev_b32_e32 v4, 5, v35
	global_load_b128 v[0:3], v4, s[4:5]
	v_and_b32_e32 v50, 0xffff, v8
	global_load_b128 v[4:7], v4, s[4:5] offset:16
	v_add_nc_u32_e32 v52, 0xc00, v24
	v_add_nc_u32_e32 v54, 0x2400, v24
	v_lshlrev_b32_e32 v20, 5, v50
	s_clause 0x1
	global_load_b128 v[8:11], v20, s[4:5]
	global_load_b128 v[20:23], v20, s[4:5] offset:16
	ds_load_2addr_b64 v[25:28], v52 offset0:6 offset1:201
	v_add_nc_u32_e32 v53, 0x1800, v24
	v_and_b32_e32 v29, 0xffff, v29
	ds_load_2addr_b64 v[31:34], v53 offset0:12 offset1:207
	ds_load_2addr_b64 v[37:40], v54 offset0:18 offset1:213
	v_add_nc_u32_e32 v55, 0x3000, v24
	v_and_b32_e32 v56, 0xff, v41
	ds_load_2addr_b64 v[45:48], v24 offset1:195
	v_mul_u32_u24_e32 v57, 9, v56
	s_wait_loadcnt_dscnt 0x201
	v_mul_f32_e32 v58, v5, v38
	v_mul_f32_e32 v5, v5, v37
	s_delay_alu instid0(VALU_DEP_2) | instskip(NEXT) | instid1(VALU_DEP_2)
	v_dual_fmac_f32 v58, v4, v37 :: v_dual_lshlrev_b32 v35, 3, v35
	v_fma_f32 v5, v4, v38, -v5
	s_wait_loadcnt 0x1
	v_mul_f32_e32 v4, v9, v28
	v_mul_u32_u24_e32 v29, 0x208, v29
	s_delay_alu instid0(VALU_DEP_2) | instskip(NEXT) | instid1(VALU_DEP_2)
	v_fmac_f32_e32 v4, v8, v27
	v_add3_u32 v29, 0, v29, v35
	v_lshlrev_b32_e32 v35, 3, v50
	v_dual_mul_f32 v57, v3, v32 :: v_dual_lshlrev_b32 v50, 3, v57
	v_mul_f32_e32 v3, v3, v31
	s_delay_alu instid0(VALU_DEP_3) | instskip(SKIP_3) | instid1(VALU_DEP_3)
	v_add3_u32 v35, 0, v49, v35
	v_mul_f32_e32 v49, v1, v26
	v_mul_f32_e32 v1, v1, v25
	v_fmac_f32_e32 v57, v2, v31
	v_fmac_f32_e32 v49, v0, v25
	s_delay_alu instid0(VALU_DEP_3)
	v_fma_f32 v0, v0, v26, -v1
	s_wait_loadcnt 0x0
	v_mul_f32_e32 v26, v40, v21
	ds_load_2addr_b64 v[41:44], v55 offset0:24 offset1:219
	v_fma_f32 v1, v2, v32, -v3
	v_mul_f32_e32 v2, v9, v27
	v_dual_mul_f32 v9, v34, v11 :: v_dual_fmac_f32 v26, v39, v20
	s_wait_dscnt 0x1
	v_dual_mul_f32 v3, v33, v11 :: v_dual_add_f32 v32, v46, v0
	s_delay_alu instid0(VALU_DEP_3)
	v_fma_f32 v8, v8, v28, -v2
	global_wb scope:SCOPE_SE
	s_wait_dscnt 0x0
	s_barrier_signal -1
	s_barrier_wait -1
	global_inv scope:SCOPE_SE
	v_add_f32_e32 v2, v45, v49
	v_dual_sub_f32 v38, v0, v1 :: v_dual_mul_f32 v59, v7, v42
	v_mul_f32_e32 v7, v7, v41
	v_mul_f32_e32 v31, v44, v23
	s_delay_alu instid0(VALU_DEP_2)
	v_fma_f32 v25, v6, v42, -v7
	v_mul_f32_e32 v7, v43, v23
	v_sub_f32_e32 v23, v57, v49
	v_fmac_f32_e32 v59, v6, v41
	v_dual_mul_f32 v6, v39, v21 :: v_dual_fmac_f32 v9, v33, v10
	v_fmac_f32_e32 v31, v43, v22
	v_fma_f32 v10, v34, v10, -v3
	s_delay_alu instid0(VALU_DEP_4) | instskip(NEXT) | instid1(VALU_DEP_4)
	v_sub_f32_e32 v28, v58, v59
	v_fma_f32 v21, v40, v20, -v6
	v_sub_f32_e32 v6, v49, v57
	v_sub_f32_e32 v20, v1, v5
	v_fma_f32 v27, v44, v22, -v7
	v_dual_add_f32 v28, v23, v28 :: v_dual_sub_f32 v11, v0, v25
	v_add_f32_e32 v22, v49, v59
	v_add_f32_e32 v3, v57, v58
	v_dual_sub_f32 v7, v59, v58 :: v_dual_sub_f32 v34, v49, v59
	v_dual_sub_f32 v37, v57, v58 :: v_dual_add_f32 v40, v0, v25
	v_sub_f32_e32 v39, v25, v5
	v_add_f32_e32 v43, v2, v57
	v_fma_f32 v2, -0.5, v22, v45
	v_dual_add_f32 v22, v47, v4 :: v_dual_add_f32 v33, v1, v5
	v_sub_f32_e32 v41, v1, v0
	v_sub_f32_e32 v42, v5, v25
	v_fma_f32 v0, -0.5, v3, v45
	v_dual_add_f32 v44, v6, v7 :: v_dual_add_f32 v7, v32, v1
	v_add_f32_e32 v32, v38, v39
	v_fma_f32 v1, -0.5, v33, v46
	v_fma_f32 v3, -0.5, v40, v46
	v_dual_sub_f32 v46, v26, v31 :: v_dual_add_f32 v23, v9, v26
	v_sub_f32_e32 v60, v4, v31
	v_dual_add_f32 v49, v48, v8 :: v_dual_sub_f32 v66, v21, v27
	v_dual_add_f32 v57, v10, v21 :: v_dual_sub_f32 v38, v8, v27
	;; [unrolled: 1-line block ×5, first 2 shown]
	v_sub_f32_e32 v62, v8, v10
	v_sub_f32_e32 v41, v31, v26
	;; [unrolled: 1-line block ×3, first 2 shown]
	v_dual_sub_f32 v63, v27, v21 :: v_dual_fmamk_f32 v6, v20, 0x3f737871, v2
	v_sub_f32_e32 v65, v10, v8
	v_dual_add_f32 v43, v43, v58 :: v_dual_fmac_f32 v2, 0xbf737871, v20
	v_fmamk_f32 v4, v11, 0xbf737871, v0
	v_fmac_f32_e32 v0, 0x3f737871, v11
	v_dual_add_f32 v58, v7, v5 :: v_dual_fmamk_f32 v5, v34, 0x3f737871, v1
	v_dual_add_f32 v40, v40, v41 :: v_dual_fmac_f32 v1, 0xbf737871, v34
	v_dual_add_f32 v22, v22, v9 :: v_dual_fmamk_f32 v7, v37, 0xbf737871, v3
	v_fma_f32 v8, -0.5, v23, v47
	v_dual_add_f32 v23, v49, v10 :: v_dual_fmac_f32 v4, 0xbf167918, v20
	v_fma_f32 v9, -0.5, v57, v48
	v_dual_fmac_f32 v3, 0x3f737871, v37 :: v_dual_fmac_f32 v48, -0.5, v64
	v_fma_f32 v47, -0.5, v42, v47
	v_dual_add_f32 v41, v45, v46 :: v_dual_add_f32 v10, v43, v59
	v_dual_add_f32 v42, v62, v63 :: v_dual_add_f32 v45, v65, v66
	v_fmac_f32_e32 v0, 0x3f167918, v20
	v_fmac_f32_e32 v6, 0xbf167918, v11
	v_dual_fmac_f32 v2, 0x3f167918, v11 :: v_dual_fmac_f32 v5, 0x3f167918, v37
	v_add_f32_e32 v11, v58, v25
	v_fmac_f32_e32 v7, 0x3f167918, v34
	v_dual_add_f32 v25, v22, v26 :: v_dual_fmamk_f32 v22, v39, 0x3f737871, v47
	v_dual_fmamk_f32 v20, v38, 0xbf737871, v8 :: v_dual_fmac_f32 v47, 0xbf737871, v39
	v_fmac_f32_e32 v8, 0x3f737871, v38
	v_dual_add_f32 v26, v23, v21 :: v_dual_fmamk_f32 v21, v60, 0x3f737871, v9
	v_fmac_f32_e32 v9, 0xbf737871, v60
	v_fmamk_f32 v23, v61, 0xbf737871, v48
	v_dual_fmac_f32 v48, 0x3f737871, v61 :: v_dual_add_f32 v25, v25, v31
	s_delay_alu instid0(VALU_DEP_4)
	v_dual_fmac_f32 v3, 0xbf167918, v34 :: v_dual_add_f32 v26, v26, v27
	v_dual_fmac_f32 v1, 0xbf167918, v37 :: v_dual_fmac_f32 v20, 0xbf167918, v39
	v_dual_fmac_f32 v21, 0x3f167918, v61 :: v_dual_fmac_f32 v8, 0x3f167918, v39
	v_fmac_f32_e32 v47, 0x3f167918, v38
	v_dual_fmac_f32 v22, 0xbf167918, v38 :: v_dual_fmac_f32 v9, 0xbf167918, v61
	v_fmac_f32_e32 v23, 0x3f167918, v60
	v_fmac_f32_e32 v48, 0xbf167918, v60
	v_dual_fmac_f32 v4, 0x3e9e377a, v44 :: v_dual_fmac_f32 v7, 0x3e9e377a, v33
	s_delay_alu instid0(VALU_DEP_4)
	v_dual_fmac_f32 v5, 0x3e9e377a, v32 :: v_dual_fmac_f32 v22, 0x3e9e377a, v41
	v_dual_fmac_f32 v0, 0x3e9e377a, v44 :: v_dual_fmac_f32 v3, 0x3e9e377a, v33
	;; [unrolled: 1-line block ×7, first 2 shown]
	ds_store_2addr_b64 v29, v[10:11], v[4:5] offset1:13
	ds_store_2addr_b64 v29, v[6:7], v[2:3] offset0:26 offset1:39
	ds_store_b64 v29, v[0:1] offset:416
	ds_store_2addr_b64 v35, v[25:26], v[20:21] offset1:13
	ds_store_2addr_b64 v35, v[22:23], v[47:48] offset0:26 offset1:39
	ds_store_b64 v35, v[8:9] offset:416
	global_wb scope:SCOPE_SE
	s_wait_dscnt 0x0
	s_barrier_signal -1
	s_barrier_wait -1
	global_inv scope:SCOPE_SE
	s_clause 0x4
	global_load_b128 v[0:3], v50, s[4:5] offset:416
	global_load_b128 v[4:7], v50, s[4:5] offset:432
	;; [unrolled: 1-line block ×4, first 2 shown]
	global_load_b64 v[49:50], v50, s[4:5] offset:480
	ds_load_2addr_b64 v[37:40], v53 offset0:12 offset1:207
	ds_load_2addr_b64 v[45:48], v55 offset0:24 offset1:219
	ds_load_2addr_b64 v[25:28], v24 offset1:195
	ds_load_2addr_b64 v[31:34], v52 offset0:6 offset1:201
	v_and_b32_e32 v29, 0xffff, v51
	v_lshlrev_b32_e32 v35, 3, v56
	ds_load_2addr_b64 v[41:44], v54 offset0:18 offset1:213
	global_wb scope:SCOPE_SE
	s_wait_loadcnt_dscnt 0x0
	s_barrier_signal -1
	s_barrier_wait -1
	global_inv scope:SCOPE_SE
	v_mul_f32_e32 v54, v1, v28
	v_mul_f32_e32 v1, v1, v27
	;; [unrolled: 1-line block ×3, first 2 shown]
	v_mul_u32_u24_e32 v29, 0x1450, v29
	v_mul_f32_e32 v62, v48, v50
	v_mul_f32_e32 v50, v47, v50
	;; [unrolled: 1-line block ×4, first 2 shown]
	v_add3_u32 v29, 0, v29, v35
	v_dual_mul_f32 v9, v9, v39 :: v_dual_fmac_f32 v62, v47, v49
	v_dual_fmac_f32 v54, v0, v27 :: v_dual_add_nc_u32 v35, 0x1400, v24
	s_delay_alu instid0(VALU_DEP_3)
	v_add_nc_u32_e32 v52, 0x800, v29
	v_mul_f32_e32 v56, v5, v34
	v_fma_f32 v27, v0, v28, -v1
	v_fma_f32 v0, v2, v32, -v3
	;; [unrolled: 1-line block ×3, first 2 shown]
	v_fmac_f32_e32 v55, v2, v31
	v_mul_f32_e32 v57, v7, v38
	v_dual_fmac_f32 v56, v4, v33 :: v_dual_add_nc_u32 v51, 0x2800, v24
	v_dual_fmac_f32 v58, v8, v39 :: v_dual_add_nc_u32 v53, 0x1000, v29
	v_mul_f32_e32 v60, v44, v21
	v_mul_f32_e32 v5, v5, v33
	v_dual_add_f32 v8, v25, v55 :: v_dual_fmac_f32 v57, v6, v37
	v_mul_f32_e32 v21, v43, v21
	s_delay_alu instid0(VALU_DEP_4) | instskip(NEXT) | instid1(VALU_DEP_4)
	v_dual_mul_f32 v61, v46, v23 :: v_dual_fmac_f32 v60, v43, v20
	v_fma_f32 v1, v4, v34, -v5
	v_add_f32_e32 v31, v26, v0
	s_delay_alu instid0(VALU_DEP_4) | instskip(NEXT) | instid1(VALU_DEP_4)
	v_fma_f32 v5, v44, v20, -v21
	v_fmac_f32_e32 v61, v45, v22
	s_delay_alu instid0(VALU_DEP_4) | instskip(NEXT) | instid1(VALU_DEP_3)
	v_sub_f32_e32 v64, v1, v3
	v_dual_sub_f32 v44, v3, v5 :: v_dual_mul_f32 v59, v42, v11
	v_dual_sub_f32 v20, v55, v57 :: v_dual_mul_f32 v11, v41, v11
	s_delay_alu instid0(VALU_DEP_1) | instskip(SKIP_1) | instid1(VALU_DEP_4)
	v_fma_f32 v4, v42, v10, -v11
	v_mul_f32_e32 v7, v7, v37
	v_fmac_f32_e32 v59, v41, v10
	v_dual_mul_f32 v23, v45, v23 :: v_dual_add_f32 v42, v58, v60
	s_delay_alu instid0(VALU_DEP_3) | instskip(NEXT) | instid1(VALU_DEP_3)
	v_fma_f32 v2, v6, v38, -v7
	v_sub_f32_e32 v28, v59, v61
	s_delay_alu instid0(VALU_DEP_3) | instskip(SKIP_3) | instid1(VALU_DEP_4)
	v_fma_f32 v6, v46, v22, -v23
	v_fma_f32 v7, v48, v49, -v50
	v_add_f32_e32 v41, v54, v56
	v_dual_sub_f32 v11, v2, v4 :: v_dual_add_f32 v50, v27, v1
	v_sub_f32_e32 v10, v0, v6
	s_delay_alu instid0(VALU_DEP_4)
	v_dual_sub_f32 v37, v0, v2 :: v_dual_add_f32 v66, v1, v7
	v_dual_sub_f32 v38, v6, v4 :: v_dual_sub_f32 v45, v56, v58
	v_add_f32_e32 v47, v56, v62
	v_dual_add_f32 v39, v0, v6 :: v_dual_sub_f32 v0, v2, v0
	v_dual_sub_f32 v21, v61, v59 :: v_dual_sub_f32 v46, v62, v60
	v_add_f32_e32 v22, v55, v61
	v_dual_sub_f32 v33, v55, v61 :: v_dual_sub_f32 v48, v58, v56
	v_dual_sub_f32 v56, v56, v62 :: v_dual_add_f32 v9, v57, v59
	v_dual_sub_f32 v23, v57, v55 :: v_dual_add_f32 v8, v8, v57
	v_add_f32_e32 v32, v2, v4
	v_sub_f32_e32 v34, v57, v59
	v_sub_f32_e32 v40, v4, v6
	v_fma_f32 v57, -0.5, v9, v25
	v_add_f32_e32 v9, v20, v21
	v_fma_f32 v20, -0.5, v22, v25
	s_delay_alu instid0(VALU_DEP_4)
	v_dual_sub_f32 v43, v1, v7 :: v_dual_add_f32 v0, v0, v40
	v_dual_sub_f32 v65, v7, v5 :: v_dual_add_f32 v8, v8, v59
	v_add_f32_e32 v21, v23, v28
	v_add_f32_e32 v2, v31, v2
	v_fma_f32 v31, -0.5, v32, v26
	v_fma_f32 v25, -0.5, v42, v54
	v_fmamk_f32 v40, v11, 0x3f737871, v20
	v_fmac_f32_e32 v20, 0xbf737871, v11
	v_fmac_f32_e32 v54, -0.5, v47
	v_fma_f32 v28, -0.5, v39, v26
	v_add_f32_e32 v23, v41, v58
	v_dual_sub_f32 v49, v60, v62 :: v_dual_add_f32 v2, v2, v4
	v_dual_add_f32 v55, v3, v5 :: v_dual_add_f32 v22, v37, v38
	v_dual_sub_f32 v63, v58, v60 :: v_dual_add_f32 v26, v45, v46
	v_dual_sub_f32 v1, v3, v1 :: v_dual_fmamk_f32 v42, v34, 0xbf737871, v28
	s_delay_alu instid0(VALU_DEP_4)
	v_dual_fmamk_f32 v41, v33, 0x3f737871, v31 :: v_dual_add_f32 v6, v2, v6
	v_fmamk_f32 v45, v44, 0x3f737871, v54
	v_dual_fmac_f32 v54, 0xbf737871, v44 :: v_dual_add_f32 v3, v50, v3
	v_dual_add_f32 v4, v23, v60 :: v_dual_fmamk_f32 v39, v10, 0xbf737871, v57
	v_dual_sub_f32 v67, v5, v7 :: v_dual_add_f32 v32, v48, v49
	v_fma_f32 v37, -0.5, v55, v27
	v_dual_fmac_f32 v27, -0.5, v66 :: v_dual_add_f32 v8, v8, v61
	v_fmac_f32_e32 v28, 0x3f737871, v34
	v_dual_fmac_f32 v41, 0x3f167918, v34 :: v_dual_fmac_f32 v42, 0x3f167918, v33
	v_dual_add_f32 v2, v4, v62 :: v_dual_fmac_f32 v39, 0xbf167918, v11
	s_delay_alu instid0(VALU_DEP_3) | instskip(SKIP_2) | instid1(VALU_DEP_4)
	v_dual_fmac_f32 v28, 0xbf167918, v33 :: v_dual_add_f32 v1, v1, v67
	v_fmamk_f32 v46, v63, 0xbf737871, v27
	v_dual_add_f32 v3, v3, v5 :: v_dual_fmac_f32 v40, 0xbf167918, v10
	v_dual_fmac_f32 v39, 0x3e9e377a, v9 :: v_dual_fmac_f32 v42, 0x3e9e377a, v0
	v_fmamk_f32 v5, v56, 0x3f737871, v37
	v_dual_add_f32 v38, v64, v65 :: v_dual_fmamk_f32 v23, v43, 0xbf737871, v25
	v_fmac_f32_e32 v45, 0xbf167918, v43
	v_dual_add_f32 v3, v3, v7 :: v_dual_fmac_f32 v46, 0x3f167918, v56
	s_delay_alu instid0(VALU_DEP_4)
	v_fmac_f32_e32 v5, 0x3f167918, v63
	v_fmac_f32_e32 v31, 0xbf737871, v33
	;; [unrolled: 1-line block ×4, first 2 shown]
	v_dual_fmac_f32 v45, 0x3e9e377a, v32 :: v_dual_fmac_f32 v46, 0x3e9e377a, v1
	v_fmac_f32_e32 v5, 0x3e9e377a, v38
	v_add_f32_e32 v0, v8, v2
	v_dual_sub_f32 v2, v8, v2 :: v_dual_fmac_f32 v23, 0xbf167918, v44
	v_dual_fmac_f32 v40, 0x3e9e377a, v21 :: v_dual_fmac_f32 v41, 0x3e9e377a, v22
	v_fmac_f32_e32 v20, 0x3e9e377a, v21
	v_mul_f32_e32 v21, 0xbf167918, v5
	s_delay_alu instid0(VALU_DEP_4) | instskip(SKIP_1) | instid1(VALU_DEP_2)
	v_fmac_f32_e32 v23, 0x3e9e377a, v26
	v_fmac_f32_e32 v37, 0xbf737871, v56
	;; [unrolled: 1-line block ×3, first 2 shown]
	s_delay_alu instid0(VALU_DEP_1) | instskip(NEXT) | instid1(VALU_DEP_1)
	v_dual_fmac_f32 v25, 0x3f737871, v43 :: v_dual_add_f32 v4, v39, v21
	v_fmac_f32_e32 v25, 0x3f167918, v44
	s_delay_alu instid0(VALU_DEP_1) | instskip(SKIP_2) | instid1(VALU_DEP_2)
	v_fmac_f32_e32 v25, 0x3e9e377a, v26
	v_mul_f32_e32 v26, 0xbf737871, v46
	v_fmac_f32_e32 v37, 0xbf167918, v63
	v_fmac_f32_e32 v26, 0x3e9e377a, v45
	;; [unrolled: 1-line block ×3, first 2 shown]
	s_delay_alu instid0(VALU_DEP_3) | instskip(SKIP_2) | instid1(VALU_DEP_4)
	v_fmac_f32_e32 v37, 0x3e9e377a, v38
	v_mul_f32_e32 v38, 0x3e9e377a, v46
	v_fmac_f32_e32 v57, 0x3f737871, v10
	v_fmac_f32_e32 v27, 0xbf167918, v56
	s_delay_alu instid0(VALU_DEP_4)
	v_mul_f32_e32 v33, 0xbf167918, v37
	v_mul_f32_e32 v37, 0xbf4f1bbd, v37
	v_fmac_f32_e32 v54, 0x3f167918, v43
	v_fmac_f32_e32 v38, 0x3f737871, v45
	;; [unrolled: 1-line block ×3, first 2 shown]
	v_add_f32_e32 v1, v6, v3
	v_fmac_f32_e32 v37, 0x3f167918, v25
	v_fmac_f32_e32 v54, 0x3e9e377a, v32
	;; [unrolled: 1-line block ×3, first 2 shown]
	v_mul_f32_e32 v32, 0xbf737871, v27
	v_sub_f32_e32 v3, v6, v3
	v_mul_f32_e32 v43, 0xbe9e377a, v27
	v_add_f32_e32 v7, v42, v38
	v_add_f32_e32 v6, v40, v26
	v_fmac_f32_e32 v32, 0xbe9e377a, v54
	v_fmac_f32_e32 v57, 0x3f167918, v11
	;; [unrolled: 1-line block ×3, first 2 shown]
	v_sub_f32_e32 v25, v40, v26
	v_sub_f32_e32 v26, v42, v38
	s_delay_alu instid0(VALU_DEP_4) | instskip(SKIP_2) | instid1(VALU_DEP_3)
	v_dual_add_f32 v8, v20, v32 :: v_dual_fmac_f32 v57, 0x3e9e377a, v9
	v_fmac_f32_e32 v31, 0xbf167918, v34
	v_dual_mul_f32 v34, 0x3f4f1bbd, v5 :: v_dual_sub_f32 v27, v20, v32
	v_dual_add_f32 v9, v28, v43 :: v_dual_sub_f32 v20, v57, v33
	s_delay_alu instid0(VALU_DEP_3) | instskip(NEXT) | instid1(VALU_DEP_3)
	v_fmac_f32_e32 v31, 0x3e9e377a, v22
	v_fmac_f32_e32 v34, 0x3f167918, v23
	v_add_f32_e32 v10, v57, v33
	v_sub_f32_e32 v22, v39, v21
	s_delay_alu instid0(VALU_DEP_4) | instskip(NEXT) | instid1(VALU_DEP_4)
	v_dual_sub_f32 v28, v28, v43 :: v_dual_add_f32 v11, v31, v37
	v_add_f32_e32 v5, v41, v34
	v_sub_f32_e32 v23, v41, v34
	v_sub_f32_e32 v21, v31, v37
	ds_store_2addr_b64 v29, v[0:1], v[4:5] offset1:65
	ds_store_2addr_b64 v29, v[6:7], v[8:9] offset0:130 offset1:195
	ds_store_2addr_b64 v52, v[10:11], v[2:3] offset0:4 offset1:69
	;; [unrolled: 1-line block ×4, first 2 shown]
	global_wb scope:SCOPE_SE
	s_wait_dscnt 0x0
	s_barrier_signal -1
	s_barrier_wait -1
	global_inv scope:SCOPE_SE
	ds_load_2addr_b64 v[0:3], v24 offset1:195
	ds_load_2addr_b64 v[4:7], v35 offset0:10 offset1:205
	ds_load_2addr_b64 v[8:11], v51 offset0:20 offset1:215
	ds_load_b64 v[22:23], v24 offset:3120
	ds_load_b64 v[26:27], v24 offset:8320
	;; [unrolled: 1-line block ×3, first 2 shown]
	s_and_saveexec_b32 s1, s0
	s_cbranch_execz .LBB0_15
; %bb.14:
	ds_load_b64 v[20:21], v24 offset:4680
	ds_load_b64 v[18:19], v24 offset:9880
	;; [unrolled: 1-line block ×3, first 2 shown]
.LBB0_15:
	s_wait_alu 0xfffe
	s_or_b32 exec_lo, exec_lo, s1
	s_and_saveexec_b32 s1, vcc_lo
	s_cbranch_execz .LBB0_18
; %bb.16:
	v_dual_mov_b32 v25, 0 :: v_dual_add_nc_u32 v64, 0x186, v36
	v_mul_lo_u32 v35, s3, v14
	v_mul_lo_u32 v57, s2, v15
	v_mad_co_u64_u32 v[14:15], null, s2, v14, 0
	v_mad_co_u64_u32 v[47:48], null, s16, v30, 0
	v_lshlrev_b32_e32 v24, 1, v64
	v_add_nc_u32_e32 v60, 0x28a, v36
	v_mad_co_u64_u32 v[45:46], null, s16, v36, 0
	v_add3_u32 v15, v15, v57, v35
	v_add_nc_u32_e32 v61, 0x514, v36
	v_mov_b32_e32 v35, v48
	v_lshlrev_b64_e32 v[31:32], 3, v[24:25]
	v_mad_co_u64_u32 v[49:50], null, s16, v60, 0
	v_add_nc_u32_e32 v63, 0x5d7, v36
	v_mul_hi_u32 v65, 0xc9a633fd, v64
	v_lshlrev_b64_e32 v[14:15], 3, v[14:15]
	v_add_co_u32 v31, vcc_lo, s4, v31
	s_wait_alu 0xfffd
	v_add_co_ci_u32_e32 v32, vcc_lo, s5, v32, vcc_lo
	v_mad_co_u64_u32 v[55:56], null, s16, v63, 0
	v_lshlrev_b32_e32 v24, 1, v30
	global_load_b128 v[31:34], v[31:32], off offset:5096
	v_lshrrev_b32_e32 v48, 9, v65
	v_lshlrev_b64_e32 v[12:13], 3, v[12:13]
	v_lshlrev_b64_e32 v[37:38], 3, v[24:25]
	v_lshlrev_b32_e32 v24, 1, v36
	s_delay_alu instid0(VALU_DEP_2) | instskip(SKIP_1) | instid1(VALU_DEP_3)
	v_add_co_u32 v37, vcc_lo, s4, v37
	s_wait_alu 0xfffd
	v_add_co_ci_u32_e32 v38, vcc_lo, s5, v38, vcc_lo
	s_delay_alu instid0(VALU_DEP_3)
	v_lshlrev_b64_e32 v[41:42], 3, v[24:25]
	v_mov_b32_e32 v24, v46
	v_mad_co_u64_u32 v[51:52], null, s16, v61, 0
	global_load_b128 v[37:40], v[37:38], off offset:5096
	v_add_nc_u32_e32 v62, 0x34d, v36
	v_add_co_u32 v41, vcc_lo, s4, v41
	s_wait_alu 0xfffd
	v_add_co_ci_u32_e32 v42, vcc_lo, s5, v42, vcc_lo
	s_delay_alu instid0(VALU_DEP_3)
	v_mad_co_u64_u32 v[53:54], null, s16, v62, 0
	v_mad_co_u64_u32 v[57:58], null, s17, v36, v[24:25]
	global_load_b128 v[41:44], v[41:42], off offset:5096
	v_mov_b32_e32 v24, v50
	v_mad_co_u64_u32 v[58:59], null, s17, v30, v[35:36]
	v_dual_mov_b32 v30, v54 :: v_dual_mov_b32 v35, v56
	s_delay_alu instid0(VALU_DEP_3) | instskip(SKIP_2) | instid1(VALU_DEP_2)
	v_mad_co_u64_u32 v[59:60], null, s17, v60, v[24:25]
	v_mad_u32_u24 v24, 0x514, v48, v64
	v_mov_b32_e32 v46, v52
	v_add_nc_u32_e32 v64, 0x514, v24
	s_delay_alu instid0(VALU_DEP_2)
	v_mad_co_u64_u32 v[60:61], null, s17, v61, v[46:47]
	v_mov_b32_e32 v46, v57
	s_wait_loadcnt 0x2
	v_mad_co_u64_u32 v[61:62], null, s17, v62, v[30:31]
	v_add_co_u32 v30, vcc_lo, s10, v14
	v_mad_co_u64_u32 v[62:63], null, s17, v63, v[35:36]
	s_wait_alu 0xfffd
	v_add_co_ci_u32_e32 v35, vcc_lo, s11, v15, vcc_lo
	v_add_nc_u32_e32 v63, 0x28a, v24
	v_add_co_u32 v12, vcc_lo, v30, v12
	s_wait_dscnt 0x1
	v_mul_f32_e32 v30, v32, v26
	v_mul_f32_e32 v32, v32, v27
	v_mad_co_u64_u32 v[14:15], null, s16, v24, 0
	v_mov_b32_e32 v54, v61
	s_delay_alu instid0(VALU_DEP_4)
	v_fma_f32 v27, v31, v27, -v30
	v_mov_b32_e32 v48, v58
	v_mad_co_u64_u32 v[57:58], null, s16, v63, 0
	v_mov_b32_e32 v52, v60
	v_fmac_f32_e32 v32, v31, v26
	v_mov_b32_e32 v50, v59
	v_mad_co_u64_u32 v[59:60], null, s16, v64, 0
	s_wait_loadcnt 0x1
	v_mul_f32_e32 v30, v40, v11
	v_mov_b32_e32 v56, v62
	s_wait_dscnt 0x0
	v_mad_co_u64_u32 v[61:62], null, s17, v24, v[15:16]
	s_delay_alu instid0(VALU_DEP_3) | instskip(SKIP_3) | instid1(VALU_DEP_3)
	v_dual_mov_b32 v15, v58 :: v_dual_fmac_f32 v30, v39, v10
	v_dual_mov_b32 v24, v60 :: v_dual_add_f32 v31, v23, v27
	s_wait_alu 0xfffd
	v_add_co_ci_u32_e32 v13, vcc_lo, v35, v13, vcc_lo
	v_mad_co_u64_u32 v[62:63], null, s17, v63, v[15:16]
	s_delay_alu instid0(VALU_DEP_3) | instskip(SKIP_3) | instid1(VALU_DEP_3)
	v_mad_co_u64_u32 v[63:64], null, s17, v64, v[24:25]
	v_dual_mov_b32 v15, v61 :: v_dual_mul_f32 v24, v34, v28
	v_mul_f32_e32 v61, v34, v29
	v_lshlrev_b64_e32 v[47:48], 3, v[47:48]
	v_lshlrev_b64_e32 v[14:15], 3, v[14:15]
	s_delay_alu instid0(VALU_DEP_4) | instskip(NEXT) | instid1(VALU_DEP_4)
	v_fma_f32 v24, v33, v29, -v24
	v_dual_fmac_f32 v61, v33, v28 :: v_dual_mul_f32 v28, v40, v10
	v_mul_f32_e32 v29, v38, v7
	v_mov_b32_e32 v58, v62
	v_lshlrev_b64_e32 v[45:46], 3, v[45:46]
	s_delay_alu instid0(VALU_DEP_4) | instskip(NEXT) | instid1(VALU_DEP_4)
	v_fma_f32 v11, v39, v11, -v28
	v_fmac_f32_e32 v29, v37, v6
	s_wait_loadcnt 0x0
	v_dual_mul_f32 v39, v44, v9 :: v_dual_mul_f32 v26, v38, v6
	v_mul_f32_e32 v28, v44, v8
	v_add_co_u32 v45, vcc_lo, v12, v45
	s_delay_alu instid0(VALU_DEP_3) | instskip(NEXT) | instid1(VALU_DEP_4)
	v_fmac_f32_e32 v39, v43, v8
	v_fma_f32 v26, v37, v7, -v26
	v_add_f32_e32 v7, v24, v31
	v_dual_sub_f32 v31, v29, v30 :: v_dual_add_f32 v38, v24, v27
	v_mul_f32_e32 v10, v42, v4
	v_fma_f32 v28, v43, v9, -v28
	v_sub_f32_e32 v40, v32, v61
	v_mul_f32_e32 v37, v42, v5
	v_fma_f32 v23, -0.5, v38, v23
	v_fma_f32 v10, v41, v5, -v10
	s_wait_alu 0xfffd
	v_add_co_ci_u32_e32 v46, vcc_lo, v13, v46, vcc_lo
	v_add_co_u32 v47, vcc_lo, v12, v47
	v_fmamk_f32 v5, v40, 0xbf5db3d7, v23
	v_fmac_f32_e32 v23, 0x3f5db3d7, v40
	v_add_f32_e32 v33, v22, v32
	v_lshlrev_b64_e32 v[49:50], 3, v[49:50]
	v_sub_f32_e32 v27, v27, v24
	v_lshlrev_b64_e32 v[51:52], 3, v[51:52]
	s_wait_alu 0xfffd
	v_add_co_ci_u32_e32 v48, vcc_lo, v13, v48, vcc_lo
	v_lshlrev_b64_e32 v[53:54], 3, v[53:54]
	v_add_co_u32 v49, vcc_lo, v12, v49
	v_fmac_f32_e32 v37, v41, v4
	v_add_f32_e32 v32, v61, v32
	v_mov_b32_e32 v60, v63
	v_add_f32_e32 v6, v61, v33
	v_add_f32_e32 v24, v26, v11
	v_dual_sub_f32 v33, v26, v11 :: v_dual_add_f32 v26, v3, v26
	s_wait_alu 0xfffd
	v_add_co_ci_u32_e32 v50, vcc_lo, v13, v50, vcc_lo
	v_lshlrev_b64_e32 v[55:56], 3, v[55:56]
	v_add_co_u32 v51, vcc_lo, v12, v51
	s_wait_alu 0xfffd
	v_add_co_ci_u32_e32 v52, vcc_lo, v13, v52, vcc_lo
	v_fmac_f32_e32 v22, -0.5, v32
	v_dual_add_f32 v32, v29, v30 :: v_dual_add_f32 v29, v2, v29
	v_add_co_u32 v53, vcc_lo, v12, v53
	v_add_f32_e32 v9, v26, v11
	v_dual_add_f32 v11, v10, v28 :: v_dual_add_f32 v26, v37, v39
	s_wait_alu 0xfffd
	v_add_co_ci_u32_e32 v54, vcc_lo, v13, v54, vcc_lo
	v_add_co_u32 v55, vcc_lo, v12, v55
	v_lshlrev_b64_e32 v[57:58], 3, v[57:58]
	v_add_f32_e32 v8, v29, v30
	v_sub_f32_e32 v30, v10, v28
	v_dual_add_f32 v10, v1, v10 :: v_dual_add_f32 v29, v0, v37
	s_wait_alu 0xfffd
	v_add_co_ci_u32_e32 v56, vcc_lo, v13, v56, vcc_lo
	v_fma_f32 v3, -0.5, v24, v3
	v_sub_f32_e32 v24, v37, v39
	v_fma_f32 v1, -0.5, v11, v1
	v_fma_f32 v0, -0.5, v26, v0
	v_lshlrev_b64_e32 v[59:60], 3, v[59:60]
	v_add_co_u32 v14, vcc_lo, v12, v14
	s_wait_alu 0xfffd
	v_add_co_ci_u32_e32 v15, vcc_lo, v13, v15, vcc_lo
	v_fma_f32 v2, -0.5, v32, v2
	v_add_co_u32 v57, vcc_lo, v12, v57
	v_fmamk_f32 v4, v27, 0x3f5db3d7, v22
	v_dual_fmac_f32 v22, 0xbf5db3d7, v27 :: v_dual_add_f32 v27, v10, v28
	v_dual_add_f32 v26, v29, v39 :: v_dual_fmamk_f32 v29, v24, 0xbf5db3d7, v1
	v_dual_fmac_f32 v1, 0x3f5db3d7, v24 :: v_dual_fmamk_f32 v28, v30, 0x3f5db3d7, v0
	v_fmac_f32_e32 v0, 0xbf5db3d7, v30
	s_wait_alu 0xfffd
	v_add_co_ci_u32_e32 v58, vcc_lo, v13, v58, vcc_lo
	v_add_co_u32 v34, vcc_lo, v12, v59
	v_fmamk_f32 v11, v31, 0xbf5db3d7, v3
	v_dual_fmamk_f32 v10, v33, 0x3f5db3d7, v2 :: v_dual_fmac_f32 v3, 0x3f5db3d7, v31
	v_fmac_f32_e32 v2, 0xbf5db3d7, v33
	s_wait_alu 0xfffd
	v_add_co_ci_u32_e32 v35, vcc_lo, v13, v60, vcc_lo
	s_clause 0x8
	global_store_b64 v[45:46], v[26:27], off
	global_store_b64 v[49:50], v[0:1], off
	;; [unrolled: 1-line block ×9, first 2 shown]
	s_and_b32 exec_lo, exec_lo, s0
	s_cbranch_execz .LBB0_18
; %bb.17:
	v_add_nc_u32_e32 v14, 0x4d3, v36
	v_add_nc_u32_e32 v22, 0x75d, v36
	;; [unrolled: 1-line block ×3, first 2 shown]
	s_delay_alu instid0(VALU_DEP_3) | instskip(NEXT) | instid1(VALU_DEP_3)
	v_mad_co_u64_u32 v[6:7], null, s16, v14, 0
	v_mad_co_u64_u32 v[8:9], null, s16, v22, 0
	s_delay_alu instid0(VALU_DEP_1) | instskip(NEXT) | instid1(VALU_DEP_1)
	v_mad_co_u64_u32 v[14:15], null, s17, v14, v[7:8]
	v_dual_mov_b32 v7, v14 :: v_dual_add_nc_u32 v10, 0x249, v36
	s_delay_alu instid0(VALU_DEP_1) | instskip(SKIP_1) | instid1(VALU_DEP_2)
	v_mad_co_u64_u32 v[4:5], null, s16, v10, 0
	v_cndmask_b32_e64 v0, v0, v10, s0
	v_mad_co_u64_u32 v[10:11], null, s17, v10, v[5:6]
	s_delay_alu instid0(VALU_DEP_4) | instskip(NEXT) | instid1(VALU_DEP_2)
	v_lshlrev_b64_e32 v[6:7], 3, v[6:7]
	v_mad_co_u64_u32 v[22:23], null, s17, v22, v[9:10]
	s_delay_alu instid0(VALU_DEP_4) | instskip(NEXT) | instid1(VALU_DEP_2)
	v_dual_mov_b32 v5, v10 :: v_dual_lshlrev_b32 v24, 1, v0
	v_mov_b32_e32 v9, v22
	s_delay_alu instid0(VALU_DEP_2) | instskip(NEXT) | instid1(VALU_DEP_3)
	v_lshlrev_b64_e32 v[0:1], 3, v[24:25]
	v_lshlrev_b64_e32 v[4:5], 3, v[4:5]
	s_delay_alu instid0(VALU_DEP_3) | instskip(NEXT) | instid1(VALU_DEP_3)
	v_lshlrev_b64_e32 v[8:9], 3, v[8:9]
	v_add_co_u32 v0, vcc_lo, s4, v0
	s_wait_alu 0xfffd
	s_delay_alu instid0(VALU_DEP_4) | instskip(NEXT) | instid1(VALU_DEP_4)
	v_add_co_ci_u32_e32 v1, vcc_lo, s5, v1, vcc_lo
	v_add_co_u32 v4, vcc_lo, v12, v4
	s_wait_alu 0xfffd
	v_add_co_ci_u32_e32 v5, vcc_lo, v13, v5, vcc_lo
	global_load_b128 v[0:3], v[0:1], off offset:5096
	v_add_co_u32 v6, vcc_lo, v12, v6
	s_wait_alu 0xfffd
	v_add_co_ci_u32_e32 v7, vcc_lo, v13, v7, vcc_lo
	s_wait_loadcnt 0x0
	v_mul_f32_e32 v10, v19, v1
	v_mul_f32_e32 v1, v18, v1
	;; [unrolled: 1-line block ×3, first 2 shown]
	s_delay_alu instid0(VALU_DEP_3) | instskip(NEXT) | instid1(VALU_DEP_3)
	v_dual_mul_f32 v3, v16, v3 :: v_dual_fmac_f32 v10, v18, v0
	v_fma_f32 v14, v19, v0, -v1
	s_delay_alu instid0(VALU_DEP_3) | instskip(NEXT) | instid1(VALU_DEP_3)
	v_fmac_f32_e32 v11, v16, v2
	v_fma_f32 v3, v17, v2, -v3
	v_add_co_u32 v0, vcc_lo, v12, v8
	s_wait_alu 0xfffd
	v_add_co_ci_u32_e32 v1, vcc_lo, v13, v9, vcc_lo
	v_dual_add_f32 v2, v10, v11 :: v_dual_add_f32 v13, v21, v14
	v_dual_add_f32 v8, v20, v10 :: v_dual_add_f32 v9, v14, v3
	v_sub_f32_e32 v12, v14, v3
	s_delay_alu instid0(VALU_DEP_3) | instskip(NEXT) | instid1(VALU_DEP_3)
	v_dual_fmac_f32 v20, -0.5, v2 :: v_dual_add_f32 v3, v13, v3
	v_dual_sub_f32 v10, v10, v11 :: v_dual_fmac_f32 v21, -0.5, v9
	s_delay_alu instid0(VALU_DEP_4) | instskip(NEXT) | instid1(VALU_DEP_3)
	v_add_f32_e32 v2, v8, v11
	v_fmamk_f32 v8, v12, 0xbf5db3d7, v20
	s_delay_alu instid0(VALU_DEP_3)
	v_dual_fmac_f32 v20, 0x3f5db3d7, v12 :: v_dual_fmamk_f32 v9, v10, 0x3f5db3d7, v21
	v_fmac_f32_e32 v21, 0xbf5db3d7, v10
	s_clause 0x2
	global_store_b64 v[4:5], v[2:3], off
	global_store_b64 v[6:7], v[8:9], off
	global_store_b64 v[0:1], v[20:21], off
.LBB0_18:
	s_nop 0
	s_sendmsg sendmsg(MSG_DEALLOC_VGPRS)
	s_endpgm
	.section	.rodata,"a",@progbits
	.p2align	6, 0x0
	.amdhsa_kernel fft_rtc_back_len1950_factors_13_5_10_3_wgs_195_tpt_195_sp_op_CI_CI_sbrr_dirReg
		.amdhsa_group_segment_fixed_size 0
		.amdhsa_private_segment_fixed_size 0
		.amdhsa_kernarg_size 104
		.amdhsa_user_sgpr_count 2
		.amdhsa_user_sgpr_dispatch_ptr 0
		.amdhsa_user_sgpr_queue_ptr 0
		.amdhsa_user_sgpr_kernarg_segment_ptr 1
		.amdhsa_user_sgpr_dispatch_id 0
		.amdhsa_user_sgpr_private_segment_size 0
		.amdhsa_wavefront_size32 1
		.amdhsa_uses_dynamic_stack 0
		.amdhsa_enable_private_segment 0
		.amdhsa_system_sgpr_workgroup_id_x 1
		.amdhsa_system_sgpr_workgroup_id_y 0
		.amdhsa_system_sgpr_workgroup_id_z 0
		.amdhsa_system_sgpr_workgroup_info 0
		.amdhsa_system_vgpr_workitem_id 0
		.amdhsa_next_free_vgpr 125
		.amdhsa_next_free_sgpr 43
		.amdhsa_reserve_vcc 1
		.amdhsa_float_round_mode_32 0
		.amdhsa_float_round_mode_16_64 0
		.amdhsa_float_denorm_mode_32 3
		.amdhsa_float_denorm_mode_16_64 3
		.amdhsa_fp16_overflow 0
		.amdhsa_workgroup_processor_mode 1
		.amdhsa_memory_ordered 1
		.amdhsa_forward_progress 0
		.amdhsa_round_robin_scheduling 0
		.amdhsa_exception_fp_ieee_invalid_op 0
		.amdhsa_exception_fp_denorm_src 0
		.amdhsa_exception_fp_ieee_div_zero 0
		.amdhsa_exception_fp_ieee_overflow 0
		.amdhsa_exception_fp_ieee_underflow 0
		.amdhsa_exception_fp_ieee_inexact 0
		.amdhsa_exception_int_div_zero 0
	.end_amdhsa_kernel
	.text
.Lfunc_end0:
	.size	fft_rtc_back_len1950_factors_13_5_10_3_wgs_195_tpt_195_sp_op_CI_CI_sbrr_dirReg, .Lfunc_end0-fft_rtc_back_len1950_factors_13_5_10_3_wgs_195_tpt_195_sp_op_CI_CI_sbrr_dirReg
                                        ; -- End function
	.section	.AMDGPU.csdata,"",@progbits
; Kernel info:
; codeLenInByte = 10036
; NumSgprs: 45
; NumVgprs: 125
; ScratchSize: 0
; MemoryBound: 0
; FloatMode: 240
; IeeeMode: 1
; LDSByteSize: 0 bytes/workgroup (compile time only)
; SGPRBlocks: 5
; VGPRBlocks: 15
; NumSGPRsForWavesPerEU: 45
; NumVGPRsForWavesPerEU: 125
; Occupancy: 10
; WaveLimiterHint : 1
; COMPUTE_PGM_RSRC2:SCRATCH_EN: 0
; COMPUTE_PGM_RSRC2:USER_SGPR: 2
; COMPUTE_PGM_RSRC2:TRAP_HANDLER: 0
; COMPUTE_PGM_RSRC2:TGID_X_EN: 1
; COMPUTE_PGM_RSRC2:TGID_Y_EN: 0
; COMPUTE_PGM_RSRC2:TGID_Z_EN: 0
; COMPUTE_PGM_RSRC2:TIDIG_COMP_CNT: 0
	.text
	.p2alignl 7, 3214868480
	.fill 96, 4, 3214868480
	.type	__hip_cuid_d6ca60a522f5eea8,@object ; @__hip_cuid_d6ca60a522f5eea8
	.section	.bss,"aw",@nobits
	.globl	__hip_cuid_d6ca60a522f5eea8
__hip_cuid_d6ca60a522f5eea8:
	.byte	0                               ; 0x0
	.size	__hip_cuid_d6ca60a522f5eea8, 1

	.ident	"AMD clang version 19.0.0git (https://github.com/RadeonOpenCompute/llvm-project roc-6.4.0 25133 c7fe45cf4b819c5991fe208aaa96edf142730f1d)"
	.section	".note.GNU-stack","",@progbits
	.addrsig
	.addrsig_sym __hip_cuid_d6ca60a522f5eea8
	.amdgpu_metadata
---
amdhsa.kernels:
  - .args:
      - .actual_access:  read_only
        .address_space:  global
        .offset:         0
        .size:           8
        .value_kind:     global_buffer
      - .offset:         8
        .size:           8
        .value_kind:     by_value
      - .actual_access:  read_only
        .address_space:  global
        .offset:         16
        .size:           8
        .value_kind:     global_buffer
      - .actual_access:  read_only
        .address_space:  global
        .offset:         24
        .size:           8
        .value_kind:     global_buffer
      - .actual_access:  read_only
        .address_space:  global
        .offset:         32
        .size:           8
        .value_kind:     global_buffer
      - .offset:         40
        .size:           8
        .value_kind:     by_value
      - .actual_access:  read_only
        .address_space:  global
        .offset:         48
        .size:           8
        .value_kind:     global_buffer
      - .actual_access:  read_only
        .address_space:  global
        .offset:         56
        .size:           8
        .value_kind:     global_buffer
      - .offset:         64
        .size:           4
        .value_kind:     by_value
      - .actual_access:  read_only
        .address_space:  global
        .offset:         72
        .size:           8
        .value_kind:     global_buffer
      - .actual_access:  read_only
        .address_space:  global
        .offset:         80
        .size:           8
        .value_kind:     global_buffer
      - .actual_access:  read_only
        .address_space:  global
        .offset:         88
        .size:           8
        .value_kind:     global_buffer
      - .actual_access:  write_only
        .address_space:  global
        .offset:         96
        .size:           8
        .value_kind:     global_buffer
    .group_segment_fixed_size: 0
    .kernarg_segment_align: 8
    .kernarg_segment_size: 104
    .language:       OpenCL C
    .language_version:
      - 2
      - 0
    .max_flat_workgroup_size: 195
    .name:           fft_rtc_back_len1950_factors_13_5_10_3_wgs_195_tpt_195_sp_op_CI_CI_sbrr_dirReg
    .private_segment_fixed_size: 0
    .sgpr_count:     45
    .sgpr_spill_count: 0
    .symbol:         fft_rtc_back_len1950_factors_13_5_10_3_wgs_195_tpt_195_sp_op_CI_CI_sbrr_dirReg.kd
    .uniform_work_group_size: 1
    .uses_dynamic_stack: false
    .vgpr_count:     125
    .vgpr_spill_count: 0
    .wavefront_size: 32
    .workgroup_processor_mode: 1
amdhsa.target:   amdgcn-amd-amdhsa--gfx1201
amdhsa.version:
  - 1
  - 2
...

	.end_amdgpu_metadata
